;; amdgpu-corpus repo=ROCm/rocFFT kind=compiled arch=gfx1100 opt=O3
	.text
	.amdgcn_target "amdgcn-amd-amdhsa--gfx1100"
	.amdhsa_code_object_version 6
	.protected	fft_rtc_back_len945_factors_3_3_3_5_7_wgs_63_tpt_63_halfLds_dp_ip_CI_sbrr_dirReg ; -- Begin function fft_rtc_back_len945_factors_3_3_3_5_7_wgs_63_tpt_63_halfLds_dp_ip_CI_sbrr_dirReg
	.globl	fft_rtc_back_len945_factors_3_3_3_5_7_wgs_63_tpt_63_halfLds_dp_ip_CI_sbrr_dirReg
	.p2align	8
	.type	fft_rtc_back_len945_factors_3_3_3_5_7_wgs_63_tpt_63_halfLds_dp_ip_CI_sbrr_dirReg,@function
fft_rtc_back_len945_factors_3_3_3_5_7_wgs_63_tpt_63_halfLds_dp_ip_CI_sbrr_dirReg: ; @fft_rtc_back_len945_factors_3_3_3_5_7_wgs_63_tpt_63_halfLds_dp_ip_CI_sbrr_dirReg
; %bb.0:
	s_clause 0x2
	s_load_b64 s[12:13], s[0:1], 0x18
	s_load_b128 s[4:7], s[0:1], 0x0
	s_load_b64 s[10:11], s[0:1], 0x50
	v_mul_u32_u24_e32 v1, 0x411, v0
	v_mov_b32_e32 v3, 0
	v_mov_b32_e32 v4, 0
	s_delay_alu instid0(VALU_DEP_3) | instskip(SKIP_1) | instid1(VALU_DEP_1)
	v_lshrrev_b32_e32 v2, 16, v1
	v_mov_b32_e32 v1, 0
	v_dual_mov_b32 v6, v1 :: v_dual_add_nc_u32 v5, s15, v2
	s_waitcnt lgkmcnt(0)
	s_load_b64 s[8:9], s[12:13], 0x0
	v_cmp_lt_u64_e64 s2, s[6:7], 2
	s_delay_alu instid0(VALU_DEP_1)
	s_and_b32 vcc_lo, exec_lo, s2
	s_cbranch_vccnz .LBB0_8
; %bb.1:
	s_load_b64 s[2:3], s[0:1], 0x10
	v_mov_b32_e32 v3, 0
	s_add_u32 s14, s12, 8
	v_mov_b32_e32 v4, 0
	s_addc_u32 s15, s13, 0
	s_mov_b64 s[18:19], 1
	s_waitcnt lgkmcnt(0)
	s_add_u32 s16, s2, 8
	s_addc_u32 s17, s3, 0
.LBB0_2:                                ; =>This Inner Loop Header: Depth=1
	s_load_b64 s[20:21], s[16:17], 0x0
                                        ; implicit-def: $vgpr7_vgpr8
	s_mov_b32 s2, exec_lo
	s_waitcnt lgkmcnt(0)
	v_or_b32_e32 v2, s21, v6
	s_delay_alu instid0(VALU_DEP_1)
	v_cmpx_ne_u64_e32 0, v[1:2]
	s_xor_b32 s3, exec_lo, s2
	s_cbranch_execz .LBB0_4
; %bb.3:                                ;   in Loop: Header=BB0_2 Depth=1
	v_cvt_f32_u32_e32 v2, s20
	v_cvt_f32_u32_e32 v7, s21
	s_sub_u32 s2, 0, s20
	s_subb_u32 s22, 0, s21
	s_delay_alu instid0(VALU_DEP_1) | instskip(NEXT) | instid1(VALU_DEP_1)
	v_fmac_f32_e32 v2, 0x4f800000, v7
	v_rcp_f32_e32 v2, v2
	s_waitcnt_depctr 0xfff
	v_mul_f32_e32 v2, 0x5f7ffffc, v2
	s_delay_alu instid0(VALU_DEP_1) | instskip(NEXT) | instid1(VALU_DEP_1)
	v_mul_f32_e32 v7, 0x2f800000, v2
	v_trunc_f32_e32 v7, v7
	s_delay_alu instid0(VALU_DEP_1) | instskip(SKIP_1) | instid1(VALU_DEP_2)
	v_fmac_f32_e32 v2, 0xcf800000, v7
	v_cvt_u32_f32_e32 v7, v7
	v_cvt_u32_f32_e32 v2, v2
	s_delay_alu instid0(VALU_DEP_2) | instskip(NEXT) | instid1(VALU_DEP_2)
	v_mul_lo_u32 v8, s2, v7
	v_mul_hi_u32 v9, s2, v2
	v_mul_lo_u32 v10, s22, v2
	s_delay_alu instid0(VALU_DEP_2) | instskip(SKIP_1) | instid1(VALU_DEP_2)
	v_add_nc_u32_e32 v8, v9, v8
	v_mul_lo_u32 v9, s2, v2
	v_add_nc_u32_e32 v8, v8, v10
	s_delay_alu instid0(VALU_DEP_2) | instskip(NEXT) | instid1(VALU_DEP_2)
	v_mul_hi_u32 v10, v2, v9
	v_mul_lo_u32 v11, v2, v8
	v_mul_hi_u32 v12, v2, v8
	v_mul_hi_u32 v13, v7, v9
	v_mul_lo_u32 v9, v7, v9
	v_mul_hi_u32 v14, v7, v8
	v_mul_lo_u32 v8, v7, v8
	v_add_co_u32 v10, vcc_lo, v10, v11
	v_add_co_ci_u32_e32 v11, vcc_lo, 0, v12, vcc_lo
	s_delay_alu instid0(VALU_DEP_2) | instskip(NEXT) | instid1(VALU_DEP_2)
	v_add_co_u32 v9, vcc_lo, v10, v9
	v_add_co_ci_u32_e32 v9, vcc_lo, v11, v13, vcc_lo
	v_add_co_ci_u32_e32 v10, vcc_lo, 0, v14, vcc_lo
	s_delay_alu instid0(VALU_DEP_2) | instskip(NEXT) | instid1(VALU_DEP_2)
	v_add_co_u32 v8, vcc_lo, v9, v8
	v_add_co_ci_u32_e32 v9, vcc_lo, 0, v10, vcc_lo
	s_delay_alu instid0(VALU_DEP_2) | instskip(NEXT) | instid1(VALU_DEP_2)
	v_add_co_u32 v2, vcc_lo, v2, v8
	v_add_co_ci_u32_e32 v7, vcc_lo, v7, v9, vcc_lo
	s_delay_alu instid0(VALU_DEP_2) | instskip(SKIP_1) | instid1(VALU_DEP_3)
	v_mul_hi_u32 v8, s2, v2
	v_mul_lo_u32 v10, s22, v2
	v_mul_lo_u32 v9, s2, v7
	s_delay_alu instid0(VALU_DEP_1) | instskip(SKIP_1) | instid1(VALU_DEP_2)
	v_add_nc_u32_e32 v8, v8, v9
	v_mul_lo_u32 v9, s2, v2
	v_add_nc_u32_e32 v8, v8, v10
	s_delay_alu instid0(VALU_DEP_2) | instskip(NEXT) | instid1(VALU_DEP_2)
	v_mul_hi_u32 v10, v2, v9
	v_mul_lo_u32 v11, v2, v8
	v_mul_hi_u32 v12, v2, v8
	v_mul_hi_u32 v13, v7, v9
	v_mul_lo_u32 v9, v7, v9
	v_mul_hi_u32 v14, v7, v8
	v_mul_lo_u32 v8, v7, v8
	v_add_co_u32 v10, vcc_lo, v10, v11
	v_add_co_ci_u32_e32 v11, vcc_lo, 0, v12, vcc_lo
	s_delay_alu instid0(VALU_DEP_2) | instskip(NEXT) | instid1(VALU_DEP_2)
	v_add_co_u32 v9, vcc_lo, v10, v9
	v_add_co_ci_u32_e32 v9, vcc_lo, v11, v13, vcc_lo
	v_add_co_ci_u32_e32 v10, vcc_lo, 0, v14, vcc_lo
	s_delay_alu instid0(VALU_DEP_2) | instskip(NEXT) | instid1(VALU_DEP_2)
	v_add_co_u32 v8, vcc_lo, v9, v8
	v_add_co_ci_u32_e32 v9, vcc_lo, 0, v10, vcc_lo
	s_delay_alu instid0(VALU_DEP_2) | instskip(NEXT) | instid1(VALU_DEP_2)
	v_add_co_u32 v2, vcc_lo, v2, v8
	v_add_co_ci_u32_e32 v13, vcc_lo, v7, v9, vcc_lo
	s_delay_alu instid0(VALU_DEP_2) | instskip(SKIP_1) | instid1(VALU_DEP_3)
	v_mul_hi_u32 v14, v5, v2
	v_mad_u64_u32 v[9:10], null, v6, v2, 0
	v_mad_u64_u32 v[7:8], null, v5, v13, 0
	;; [unrolled: 1-line block ×3, first 2 shown]
	s_delay_alu instid0(VALU_DEP_2) | instskip(NEXT) | instid1(VALU_DEP_3)
	v_add_co_u32 v2, vcc_lo, v14, v7
	v_add_co_ci_u32_e32 v7, vcc_lo, 0, v8, vcc_lo
	s_delay_alu instid0(VALU_DEP_2) | instskip(NEXT) | instid1(VALU_DEP_2)
	v_add_co_u32 v2, vcc_lo, v2, v9
	v_add_co_ci_u32_e32 v2, vcc_lo, v7, v10, vcc_lo
	v_add_co_ci_u32_e32 v7, vcc_lo, 0, v12, vcc_lo
	s_delay_alu instid0(VALU_DEP_2) | instskip(NEXT) | instid1(VALU_DEP_2)
	v_add_co_u32 v2, vcc_lo, v2, v11
	v_add_co_ci_u32_e32 v9, vcc_lo, 0, v7, vcc_lo
	s_delay_alu instid0(VALU_DEP_2) | instskip(SKIP_1) | instid1(VALU_DEP_3)
	v_mul_lo_u32 v10, s21, v2
	v_mad_u64_u32 v[7:8], null, s20, v2, 0
	v_mul_lo_u32 v11, s20, v9
	s_delay_alu instid0(VALU_DEP_2) | instskip(NEXT) | instid1(VALU_DEP_2)
	v_sub_co_u32 v7, vcc_lo, v5, v7
	v_add3_u32 v8, v8, v11, v10
	s_delay_alu instid0(VALU_DEP_1) | instskip(NEXT) | instid1(VALU_DEP_1)
	v_sub_nc_u32_e32 v10, v6, v8
	v_subrev_co_ci_u32_e64 v10, s2, s21, v10, vcc_lo
	v_add_co_u32 v11, s2, v2, 2
	s_delay_alu instid0(VALU_DEP_1) | instskip(SKIP_3) | instid1(VALU_DEP_3)
	v_add_co_ci_u32_e64 v12, s2, 0, v9, s2
	v_sub_co_u32 v13, s2, v7, s20
	v_sub_co_ci_u32_e32 v8, vcc_lo, v6, v8, vcc_lo
	v_subrev_co_ci_u32_e64 v10, s2, 0, v10, s2
	v_cmp_le_u32_e32 vcc_lo, s20, v13
	s_delay_alu instid0(VALU_DEP_3) | instskip(SKIP_1) | instid1(VALU_DEP_4)
	v_cmp_eq_u32_e64 s2, s21, v8
	v_cndmask_b32_e64 v13, 0, -1, vcc_lo
	v_cmp_le_u32_e32 vcc_lo, s21, v10
	v_cndmask_b32_e64 v14, 0, -1, vcc_lo
	v_cmp_le_u32_e32 vcc_lo, s20, v7
	;; [unrolled: 2-line block ×3, first 2 shown]
	v_cndmask_b32_e64 v15, 0, -1, vcc_lo
	v_cmp_eq_u32_e32 vcc_lo, s21, v10
	s_delay_alu instid0(VALU_DEP_2) | instskip(SKIP_3) | instid1(VALU_DEP_3)
	v_cndmask_b32_e64 v7, v15, v7, s2
	v_cndmask_b32_e32 v10, v14, v13, vcc_lo
	v_add_co_u32 v13, vcc_lo, v2, 1
	v_add_co_ci_u32_e32 v14, vcc_lo, 0, v9, vcc_lo
	v_cmp_ne_u32_e32 vcc_lo, 0, v10
	s_delay_alu instid0(VALU_DEP_2) | instskip(NEXT) | instid1(VALU_DEP_4)
	v_cndmask_b32_e32 v8, v14, v12, vcc_lo
	v_cndmask_b32_e32 v10, v13, v11, vcc_lo
	v_cmp_ne_u32_e32 vcc_lo, 0, v7
	s_delay_alu instid0(VALU_DEP_2)
	v_dual_cndmask_b32 v7, v2, v10 :: v_dual_cndmask_b32 v8, v9, v8
.LBB0_4:                                ;   in Loop: Header=BB0_2 Depth=1
	s_and_not1_saveexec_b32 s2, s3
	s_cbranch_execz .LBB0_6
; %bb.5:                                ;   in Loop: Header=BB0_2 Depth=1
	v_cvt_f32_u32_e32 v2, s20
	s_sub_i32 s3, 0, s20
	s_delay_alu instid0(VALU_DEP_1) | instskip(SKIP_2) | instid1(VALU_DEP_1)
	v_rcp_iflag_f32_e32 v2, v2
	s_waitcnt_depctr 0xfff
	v_mul_f32_e32 v2, 0x4f7ffffe, v2
	v_cvt_u32_f32_e32 v2, v2
	s_delay_alu instid0(VALU_DEP_1) | instskip(NEXT) | instid1(VALU_DEP_1)
	v_mul_lo_u32 v7, s3, v2
	v_mul_hi_u32 v7, v2, v7
	s_delay_alu instid0(VALU_DEP_1) | instskip(NEXT) | instid1(VALU_DEP_1)
	v_add_nc_u32_e32 v2, v2, v7
	v_mul_hi_u32 v2, v5, v2
	s_delay_alu instid0(VALU_DEP_1) | instskip(SKIP_1) | instid1(VALU_DEP_2)
	v_mul_lo_u32 v7, v2, s20
	v_add_nc_u32_e32 v8, 1, v2
	v_sub_nc_u32_e32 v7, v5, v7
	s_delay_alu instid0(VALU_DEP_1) | instskip(SKIP_1) | instid1(VALU_DEP_2)
	v_subrev_nc_u32_e32 v9, s20, v7
	v_cmp_le_u32_e32 vcc_lo, s20, v7
	v_dual_cndmask_b32 v7, v7, v9 :: v_dual_cndmask_b32 v2, v2, v8
	s_delay_alu instid0(VALU_DEP_1) | instskip(NEXT) | instid1(VALU_DEP_2)
	v_cmp_le_u32_e32 vcc_lo, s20, v7
	v_add_nc_u32_e32 v8, 1, v2
	s_delay_alu instid0(VALU_DEP_1)
	v_dual_cndmask_b32 v7, v2, v8 :: v_dual_mov_b32 v8, v1
.LBB0_6:                                ;   in Loop: Header=BB0_2 Depth=1
	s_or_b32 exec_lo, exec_lo, s2
	s_load_b64 s[2:3], s[14:15], 0x0
	s_delay_alu instid0(VALU_DEP_1) | instskip(NEXT) | instid1(VALU_DEP_2)
	v_mul_lo_u32 v2, v8, s20
	v_mul_lo_u32 v11, v7, s21
	v_mad_u64_u32 v[9:10], null, v7, s20, 0
	s_add_u32 s18, s18, 1
	s_addc_u32 s19, s19, 0
	s_add_u32 s14, s14, 8
	s_addc_u32 s15, s15, 0
	;; [unrolled: 2-line block ×3, first 2 shown]
	s_delay_alu instid0(VALU_DEP_1) | instskip(SKIP_1) | instid1(VALU_DEP_2)
	v_add3_u32 v2, v10, v11, v2
	v_sub_co_u32 v9, vcc_lo, v5, v9
	v_sub_co_ci_u32_e32 v2, vcc_lo, v6, v2, vcc_lo
	s_waitcnt lgkmcnt(0)
	s_delay_alu instid0(VALU_DEP_2) | instskip(NEXT) | instid1(VALU_DEP_2)
	v_mul_lo_u32 v10, s3, v9
	v_mul_lo_u32 v2, s2, v2
	v_mad_u64_u32 v[5:6], null, s2, v9, v[3:4]
	v_cmp_ge_u64_e64 s2, s[18:19], s[6:7]
	s_delay_alu instid0(VALU_DEP_1) | instskip(NEXT) | instid1(VALU_DEP_2)
	s_and_b32 vcc_lo, exec_lo, s2
	v_add3_u32 v4, v10, v6, v2
	s_delay_alu instid0(VALU_DEP_3)
	v_mov_b32_e32 v3, v5
	s_cbranch_vccnz .LBB0_9
; %bb.7:                                ;   in Loop: Header=BB0_2 Depth=1
	v_dual_mov_b32 v5, v7 :: v_dual_mov_b32 v6, v8
	s_branch .LBB0_2
.LBB0_8:
	v_dual_mov_b32 v8, v6 :: v_dual_mov_b32 v7, v5
.LBB0_9:
	s_lshl_b64 s[2:3], s[6:7], 3
	v_mul_hi_u32 v1, 0x4104105, v0
	s_add_u32 s2, s12, s2
	s_addc_u32 s3, s13, s3
	s_load_b64 s[0:1], s[0:1], 0x20
	s_load_b64 s[2:3], s[2:3], 0x0
                                        ; implicit-def: $vgpr90
                                        ; implicit-def: $vgpr129
	s_delay_alu instid0(VALU_DEP_1) | instskip(NEXT) | instid1(VALU_DEP_1)
	v_mul_u32_u24_e32 v1, 63, v1
	v_sub_nc_u32_e32 v128, v0, v1
	s_delay_alu instid0(VALU_DEP_1)
	v_add_nc_u32_e32 v130, 63, v128
	v_add_nc_u32_e32 v60, 0xbd, v128
	;; [unrolled: 1-line block ×3, first 2 shown]
	s_waitcnt lgkmcnt(0)
	v_cmp_gt_u64_e32 vcc_lo, s[0:1], v[7:8]
	v_mul_lo_u32 v2, s2, v8
	v_mul_lo_u32 v5, s3, v7
	v_mad_u64_u32 v[0:1], null, s2, v7, v[3:4]
	v_cmp_le_u64_e64 s0, s[0:1], v[7:8]
	s_delay_alu instid0(VALU_DEP_2) | instskip(NEXT) | instid1(VALU_DEP_2)
	v_add3_u32 v1, v5, v1, v2
	s_and_saveexec_b32 s1, s0
	s_delay_alu instid0(SALU_CYCLE_1)
	s_xor_b32 s0, exec_lo, s1
; %bb.10:
	v_add_nc_u32_e32 v90, 63, v128
	v_add_nc_u32_e32 v129, 0x7e, v128
	;; [unrolled: 1-line block ×4, first 2 shown]
; %bb.11:
	s_or_saveexec_b32 s1, s0
	v_lshlrev_b64 v[112:113], 4, v[0:1]
                                        ; implicit-def: $vgpr34_vgpr35
                                        ; implicit-def: $vgpr54_vgpr55
                                        ; implicit-def: $vgpr50_vgpr51
                                        ; implicit-def: $vgpr30_vgpr31
                                        ; implicit-def: $vgpr58_vgpr59
                                        ; implicit-def: $vgpr46_vgpr47
                                        ; implicit-def: $vgpr22_vgpr23
                                        ; implicit-def: $vgpr38_vgpr39
                                        ; implicit-def: $vgpr18_vgpr19
                                        ; implicit-def: $vgpr14_vgpr15
                                        ; implicit-def: $vgpr42_vgpr43
                                        ; implicit-def: $vgpr6_vgpr7
                                        ; implicit-def: $vgpr2_vgpr3
                                        ; implicit-def: $vgpr26_vgpr27
                                        ; implicit-def: $vgpr10_vgpr11
	s_xor_b32 exec_lo, exec_lo, s1
	s_cbranch_execz .LBB0_13
; %bb.12:
	v_add_nc_u32_e32 v11, 0x13b, v128
	v_mad_u64_u32 v[0:1], null, s8, v128, 0
	v_mad_u64_u32 v[4:5], null, s8, v130, 0
	s_delay_alu instid0(VALU_DEP_3) | instskip(SKIP_1) | instid1(VALU_DEP_1)
	v_mad_u64_u32 v[2:3], null, s8, v11, 0
	v_add_co_u32 v54, s0, s10, v112
	v_add_co_ci_u32_e64 v55, s0, s11, v113, s0
	v_add_nc_u32_e32 v129, 0x7e, v128
	v_add_nc_u32_e32 v33, 0x1f8, v128
	v_mad_u64_u32 v[8:9], null, s9, v128, v[1:2]
	v_add_nc_u32_e32 v12, 0x276, v128
	v_mad_u64_u32 v[9:10], null, s9, v11, v[3:4]
	v_mad_u64_u32 v[16:17], null, s8, v129, 0
	;; [unrolled: 1-line block ×3, first 2 shown]
	v_mov_b32_e32 v1, v8
	v_mad_u64_u32 v[6:7], null, s8, v12, 0
	v_dual_mov_b32 v3, v9 :: v_dual_add_nc_u32 v20, 0x2b5, v128
	s_delay_alu instid0(VALU_DEP_3) | instskip(SKIP_2) | instid1(VALU_DEP_4)
	v_lshlrev_b64 v[0:1], 4, v[0:1]
	v_add_nc_u32_e32 v57, 0x372, v128
	v_add_nc_u32_e32 v30, 0x2f4, v128
	v_lshlrev_b64 v[2:3], 4, v[2:3]
	v_mad_u64_u32 v[8:9], null, s9, v130, v[5:6]
	v_mad_u64_u32 v[14:15], null, s8, v20, 0
	v_add_nc_u32_e32 v11, 0x17a, v128
	v_add_co_u32 v0, s0, v54, v0
	s_delay_alu instid0(VALU_DEP_1) | instskip(SKIP_1) | instid1(VALU_DEP_4)
	v_add_co_ci_u32_e64 v1, s0, v55, v1, s0
	v_mad_u64_u32 v[9:10], null, s9, v12, v[7:8]
	v_mad_u64_u32 v[12:13], null, s8, v11, 0
	v_dual_mov_b32 v5, v8 :: v_dual_add_nc_u32 v28, 0x1b9, v128
	v_add_co_u32 v2, s0, v54, v2
	s_delay_alu instid0(VALU_DEP_4) | instskip(NEXT) | instid1(VALU_DEP_3)
	v_mov_b32_e32 v7, v9
	v_lshlrev_b64 v[4:5], 4, v[4:5]
	v_mov_b32_e32 v8, v13
	v_add_co_ci_u32_e64 v3, s0, v55, v3, s0
	s_delay_alu instid0(VALU_DEP_4) | instskip(SKIP_1) | instid1(VALU_DEP_4)
	v_lshlrev_b64 v[6:7], 4, v[6:7]
	v_add_nc_u32_e32 v44, 0x333, v128
	v_mad_u64_u32 v[9:10], null, s9, v11, v[8:9]
	v_mov_b32_e32 v8, v15
	v_add_nc_u32_e32 v56, 0x237, v128
	v_add_co_u32 v6, s0, v54, v6
	s_delay_alu instid0(VALU_DEP_1) | instskip(SKIP_1) | instid1(VALU_DEP_1)
	v_add_co_ci_u32_e64 v7, s0, v55, v7, s0
	v_add_co_u32 v4, s0, v54, v4
	v_add_co_ci_u32_e64 v5, s0, v55, v5, s0
	v_mov_b32_e32 v13, v9
	v_mad_u64_u32 v[18:19], null, s9, v20, v[8:9]
	s_clause 0x3
	global_load_b128 v[8:11], v[0:1], off
	global_load_b128 v[24:27], v[2:3], off
	;; [unrolled: 1-line block ×4, first 2 shown]
	v_mad_u64_u32 v[48:49], null, s8, v56, 0
	v_lshlrev_b64 v[12:13], 4, v[12:13]
	v_mov_b32_e32 v90, v130
	v_mov_b32_e32 v15, v18
	v_mad_u64_u32 v[18:19], null, s8, v28, 0
	s_delay_alu instid0(VALU_DEP_4) | instskip(NEXT) | instid1(VALU_DEP_3)
	v_add_co_u32 v12, s0, v54, v12
	v_lshlrev_b64 v[14:15], 4, v[14:15]
	v_add_co_ci_u32_e64 v13, s0, v55, v13, s0
	s_delay_alu instid0(VALU_DEP_4) | instskip(NEXT) | instid1(VALU_DEP_3)
	v_mad_u64_u32 v[20:21], null, s9, v129, v[17:18]
	v_add_co_u32 v14, s0, v54, v14
	s_delay_alu instid0(VALU_DEP_1)
	v_add_co_ci_u32_e64 v15, s0, v55, v15, s0
	s_clause 0x1
	global_load_b128 v[40:43], v[12:13], off
	global_load_b128 v[12:15], v[14:15], off
	v_mov_b32_e32 v17, v20
	v_mad_u64_u32 v[20:21], null, s8, v30, 0
	s_delay_alu instid0(VALU_DEP_2) | instskip(NEXT) | instid1(VALU_DEP_2)
	v_lshlrev_b64 v[16:17], 4, v[16:17]
	v_mad_u64_u32 v[22:23], null, s9, v28, v[19:20]
	v_mad_u64_u32 v[28:29], null, s8, v60, 0
	s_delay_alu instid0(VALU_DEP_3) | instskip(NEXT) | instid1(VALU_DEP_1)
	v_add_co_u32 v16, s0, v54, v16
	v_add_co_ci_u32_e64 v17, s0, v55, v17, s0
	s_delay_alu instid0(VALU_DEP_4) | instskip(SKIP_2) | instid1(VALU_DEP_3)
	v_mov_b32_e32 v19, v22
	v_mad_u64_u32 v[22:23], null, s9, v30, v[21:22]
	v_mov_b32_e32 v23, v29
	v_lshlrev_b64 v[18:19], 4, v[18:19]
	s_delay_alu instid0(VALU_DEP_3) | instskip(NEXT) | instid1(VALU_DEP_2)
	v_mov_b32_e32 v21, v22
	v_add_co_u32 v22, s0, v54, v18
	s_delay_alu instid0(VALU_DEP_2)
	v_lshlrev_b64 v[20:21], 4, v[20:21]
	s_waitcnt vmcnt(4)
	v_mad_u64_u32 v[29:30], null, s9, v60, v[23:24]
	v_mad_u64_u32 v[30:31], null, s8, v33, 0
	v_add_co_ci_u32_e64 v23, s0, v55, v19, s0
	s_clause 0x1
	global_load_b128 v[16:19], v[16:17], off
	global_load_b128 v[36:39], v[22:23], off
	v_lshlrev_b64 v[28:29], 4, v[28:29]
	v_mov_b32_e32 v22, v31
	v_add_co_u32 v20, s0, v54, v20
	s_delay_alu instid0(VALU_DEP_1) | instskip(NEXT) | instid1(VALU_DEP_3)
	v_add_co_ci_u32_e64 v21, s0, v55, v21, s0
	v_mad_u64_u32 v[31:32], null, s9, v33, v[22:23]
	v_mad_u64_u32 v[32:33], null, s8, v44, 0
	v_mov_b32_e32 v23, v35
	v_add_co_u32 v28, s0, v54, v28
	s_delay_alu instid0(VALU_DEP_1) | instskip(NEXT) | instid1(VALU_DEP_4)
	v_add_co_ci_u32_e64 v29, s0, v55, v29, s0
	v_mov_b32_e32 v22, v33
	s_delay_alu instid0(VALU_DEP_1)
	v_mad_u64_u32 v[50:51], null, s9, v44, v[22:23]
	v_mad_u64_u32 v[51:52], null, s9, v61, v[23:24]
	;; [unrolled: 1-line block ×3, first 2 shown]
	s_clause 0x1
	global_load_b128 v[20:23], v[20:21], off
	global_load_b128 v[44:47], v[28:29], off
	v_lshlrev_b64 v[29:30], 4, v[30:31]
	v_dual_mov_b32 v28, v49 :: v_dual_mov_b32 v33, v50
	v_mov_b32_e32 v35, v51
	s_delay_alu instid0(VALU_DEP_2)
	v_mad_u64_u32 v[49:50], null, s9, v56, v[28:29]
	v_mov_b32_e32 v28, v53
	v_add_co_u32 v29, s0, v54, v29
	v_lshlrev_b64 v[31:32], 4, v[32:33]
	v_lshlrev_b64 v[33:34], 4, v[34:35]
	v_add_co_ci_u32_e64 v30, s0, v55, v30, s0
	s_delay_alu instid0(VALU_DEP_4) | instskip(NEXT) | instid1(VALU_DEP_4)
	v_mad_u64_u32 v[50:51], null, s9, v57, v[28:29]
	v_add_co_u32 v31, s0, v54, v31
	v_lshlrev_b64 v[48:49], 4, v[48:49]
	v_add_co_ci_u32_e64 v32, s0, v55, v32, s0
	v_add_co_u32 v33, s0, v54, v33
	v_mov_b32_e32 v53, v50
	v_add_co_ci_u32_e64 v34, s0, v55, v34, s0
	s_delay_alu instid0(VALU_DEP_2) | instskip(SKIP_1) | instid1(VALU_DEP_1)
	v_lshlrev_b64 v[50:51], 4, v[52:53]
	v_add_co_u32 v52, s0, v54, v48
	v_add_co_ci_u32_e64 v53, s0, v55, v49, s0
	s_delay_alu instid0(VALU_DEP_3) | instskip(NEXT) | instid1(VALU_DEP_1)
	v_add_co_u32 v62, s0, v54, v50
	v_add_co_ci_u32_e64 v63, s0, v55, v51, s0
	s_clause 0x4
	global_load_b128 v[56:59], v[29:30], off
	global_load_b128 v[28:31], v[31:32], off
	;; [unrolled: 1-line block ×5, first 2 shown]
.LBB0_13:
	s_or_b32 exec_lo, exec_lo, s1
	s_waitcnt vmcnt(12)
	v_add_f64 v[62:63], v[0:1], v[24:25]
	s_waitcnt vmcnt(9)
	v_add_f64 v[64:65], v[12:13], v[40:41]
	;; [unrolled: 2-line block ×5, first 2 shown]
	v_add_f64 v[76:77], v[2:3], v[26:27]
	v_add_f64 v[80:81], v[22:23], v[38:39]
	;; [unrolled: 1-line block ×7, first 2 shown]
	v_add_f64 v[26:27], v[26:27], -v[2:3]
	v_add_f64 v[24:25], v[24:25], -v[0:1]
	v_add_f64 v[82:83], v[40:41], v[4:5]
	v_add_f64 v[88:89], v[36:37], v[16:17]
	;; [unrolled: 1-line block ×4, first 2 shown]
	v_add_f64 v[36:37], v[36:37], -v[20:21]
	v_add_f64 v[86:87], v[42:43], -v[14:15]
	v_add_f64 v[42:43], v[42:43], v[6:7]
	v_add_f64 v[40:41], v[40:41], -v[12:13]
	v_add_f64 v[56:57], v[56:57], -v[28:29]
	;; [unrolled: 1-line block ×3, first 2 shown]
	s_mov_b32 s0, 0xe8584caa
	s_mov_b32 s1, 0xbfebb67a
	;; [unrolled: 1-line block ×4, first 2 shown]
	v_mad_u32_u24 v102, v128, 24, 0
	v_lshlrev_b32_e32 v94, 4, v128
	v_mad_i32_i24 v104, v61, 24, 0
	v_mad_i32_i24 v91, v90, 24, 0
	;; [unrolled: 1-line block ×4, first 2 shown]
	v_lshlrev_b32_e32 v96, 4, v90
	v_lshlrev_b32_e32 v97, 4, v129
	v_and_b32_e32 v111, 0xffff, v61
	s_mov_b32 s7, 0x3fee6f0e
	v_fma_f64 v[8:9], v[62:63], -0.5, v[8:9]
	v_fma_f64 v[4:5], v[64:65], -0.5, v[4:5]
	v_add_f64 v[62:63], v[38:39], -v[22:23]
	v_fma_f64 v[16:17], v[66:67], -0.5, v[16:17]
	v_add_f64 v[64:65], v[58:59], -v[30:31]
	;; [unrolled: 2-line block ×3, first 2 shown]
	v_fma_f64 v[48:49], v[70:71], -0.5, v[48:49]
	v_add_f64 v[38:39], v[38:39], v[18:19]
	v_add_f64 v[58:59], v[58:59], v[46:47]
	v_fma_f64 v[68:69], v[76:77], -0.5, v[10:11]
	v_fma_f64 v[70:71], v[80:81], -0.5, v[18:19]
	;; [unrolled: 1-line block ×4, first 2 shown]
	v_add_f64 v[54:55], v[54:55], v[50:51]
	v_fma_f64 v[50:51], v[98:99], -0.5, v[50:51]
	v_add_f64 v[0:1], v[0:1], v[72:73]
	v_add_f64 v[19:20], v[20:21], v[88:89]
	;; [unrolled: 1-line block ×6, first 2 shown]
	v_lshlrev_b32_e32 v13, 4, v61
	v_sub_nc_u32_e32 v92, v102, v94
	v_lshlrev_b32_e32 v12, 4, v60
	v_sub_nc_u32_e32 v10, v91, v96
	v_sub_nc_u32_e32 v11, v95, v97
	;; [unrolled: 1-line block ×3, first 2 shown]
	v_add_nc_u32_e32 v93, 0x800, v92
	v_add_nc_u32_e32 v94, 0x1000, v92
	v_sub_nc_u32_e32 v12, v103, v12
	v_add_nc_u32_e32 v98, 0x1800, v92
	s_mov_b32 s12, 0x4755a5e
	s_mov_b32 s13, 0xbfe2cf23
	;; [unrolled: 1-line block ×6, first 2 shown]
	v_fma_f64 v[76:77], v[26:27], s[0:1], v[8:9]
	v_fma_f64 v[8:9], v[26:27], s[2:3], v[8:9]
	;; [unrolled: 1-line block ×9, first 2 shown]
	v_add_f64 v[66:67], v[2:3], v[74:75]
	v_add_f64 v[21:22], v[22:23], v[38:39]
	;; [unrolled: 1-line block ×3, first 2 shown]
	v_fma_f64 v[58:59], v[24:25], s[2:3], v[68:69]
	v_fma_f64 v[84:85], v[36:37], s[2:3], v[70:71]
	;; [unrolled: 1-line block ×9, first 2 shown]
	v_add_f64 v[54:55], v[34:35], v[54:55]
	v_fma_f64 v[88:89], v[52:53], s[2:3], v[50:51]
	v_fma_f64 v[50:51], v[52:53], s[0:1], v[50:51]
	v_and_b32_e32 v16, 0xff, v128
	v_sub_nc_u32_e32 v96, 0, v96
	ds_store_2addr_b64 v102, v[0:1], v[76:77] offset1:1
	ds_store_b64 v102, v[8:9] offset:16
	ds_store_2addr_b64 v91, v[72:73], v[26:27] offset1:1
	ds_store_b64 v91, v[4:5] offset:16
	;; [unrolled: 2-line block ×5, first 2 shown]
	s_waitcnt lgkmcnt(0)
	s_barrier
	buffer_gl0_inv
	ds_load_2addr_b64 v[23:26], v93 offset0:59 offset1:122
	ds_load_2addr_b64 v[32:35], v94 offset0:55 offset1:118
	;; [unrolled: 1-line block ×4, first 2 shown]
	ds_load_b64 v[8:9], v92
	ds_load_b64 v[6:7], v10
	;; [unrolled: 1-line block ×4, first 2 shown]
	ds_load_2addr_b64 v[44:47], v98 offset0:51 offset1:114
	ds_load_b64 v[4:5], v13
	s_waitcnt lgkmcnt(0)
	s_barrier
	buffer_gl0_inv
	ds_store_2addr_b64 v102, v[66:67], v[58:59] offset1:1
	ds_store_b64 v102, v[68:69] offset:16
	ds_store_2addr_b64 v91, v[14:15], v[74:75] offset1:1
	ds_store_b64 v91, v[82:83] offset:16
	;; [unrolled: 2-line block ×3, first 2 shown]
	v_and_b32_e32 v15, 0xff, v90
	v_and_b32_e32 v22, 0xff, v60
	;; [unrolled: 1-line block ×3, first 2 shown]
	v_mul_lo_u16 v17, 0xab, v16
	ds_store_2addr_b64 v103, v[30:31], v[86:87] offset1:1
	ds_store_b64 v103, v[56:57] offset:16
	v_mul_lo_u16 v19, 0xab, v15
	v_mul_lo_u16 v27, 0xab, v22
	;; [unrolled: 1-line block ×3, first 2 shown]
	v_lshrrev_b16 v18, 9, v17
	ds_store_2addr_b64 v104, v[54:55], v[88:89] offset1:1
	ds_store_b64 v104, v[50:51] offset:16
	v_lshrrev_b16 v20, 9, v19
	v_lshrrev_b16 v19, 9, v27
	v_mul_u32_u24_e32 v27, 0xaaab, v111
	v_lshrrev_b16 v21, 9, v21
	v_mul_lo_u16 v17, v18, 3
	v_mul_lo_u16 v28, v20, 3
	;; [unrolled: 1-line block ×3, first 2 shown]
	v_lshrrev_b32_e32 v27, 17, v27
	v_mul_lo_u16 v29, v21, 3
	v_sub_nc_u16 v17, v128, v17
	v_sub_nc_u16 v28, v90, v28
	;; [unrolled: 1-line block ×3, first 2 shown]
	v_mul_lo_u16 v31, v27, 3
	v_sub_nc_u16 v29, v129, v29
	v_and_b32_e32 v17, 0xff, v17
	v_and_b32_e32 v28, 0xff, v28
	;; [unrolled: 1-line block ×3, first 2 shown]
	v_sub_nc_u16 v31, v61, v31
	v_and_b32_e32 v29, 0xff, v29
	v_lshlrev_b32_e32 v52, 5, v17
	v_lshlrev_b32_e32 v62, 5, v28
	;; [unrolled: 1-line block ×3, first 2 shown]
	v_and_b32_e32 v31, 0xffff, v31
	v_lshlrev_b32_e32 v70, 5, v29
	s_waitcnt lgkmcnt(0)
	s_barrier
	buffer_gl0_inv
	s_clause 0x3
	global_load_b128 v[48:51], v52, s[4:5]
	global_load_b128 v[52:55], v52, s[4:5] offset:16
	global_load_b128 v[56:59], v62, s[4:5]
	global_load_b128 v[62:65], v62, s[4:5] offset:16
	v_lshlrev_b32_e32 v86, 5, v31
	s_clause 0x5
	global_load_b128 v[66:69], v70, s[4:5] offset:16
	global_load_b128 v[70:73], v70, s[4:5]
	global_load_b128 v[74:77], v78, s[4:5]
	global_load_b128 v[78:81], v78, s[4:5] offset:16
	global_load_b128 v[82:85], v86, s[4:5]
	global_load_b128 v[86:89], v86, s[4:5] offset:16
	ds_load_2addr_b64 v[99:102], v93 offset0:59 offset1:122
	ds_load_2addr_b64 v[103:106], v94 offset0:55 offset1:118
	;; [unrolled: 1-line block ×5, first 2 shown]
	v_mul_u32_u24_e32 v111, 0xe38f, v111
	v_and_b32_e32 v20, 0xffff, v20
	v_and_b32_e32 v21, 0xffff, v21
	v_lshlrev_b32_e32 v17, 3, v17
	s_waitcnt vmcnt(9) lgkmcnt(4)
	v_mul_f64 v[122:123], v[99:100], v[50:51]
	s_waitcnt vmcnt(8) lgkmcnt(3)
	v_mul_f64 v[124:125], v[105:106], v[54:55]
	s_waitcnt vmcnt(7)
	v_mul_f64 v[126:127], v[101:102], v[58:59]
	s_waitcnt vmcnt(6) lgkmcnt(2)
	v_mul_f64 v[131:132], v[107:108], v[64:65]
	s_waitcnt vmcnt(5)
	v_mul_f64 v[133:134], v[109:110], v[68:69]
	s_waitcnt vmcnt(4) lgkmcnt(1)
	v_mul_f64 v[135:136], v[114:115], v[72:73]
	v_mul_f64 v[50:51], v[23:24], v[50:51]
	;; [unrolled: 1-line block ×3, first 2 shown]
	s_waitcnt vmcnt(1)
	v_mul_f64 v[141:142], v[103:104], v[84:85]
	s_waitcnt vmcnt(0) lgkmcnt(0)
	v_mul_f64 v[143:144], v[120:121], v[88:89]
	v_mul_f64 v[58:59], v[25:26], v[58:59]
	;; [unrolled: 1-line block ×11, first 2 shown]
	v_fma_f64 v[122:123], v[23:24], v[48:49], v[122:123]
	v_fma_f64 v[34:35], v[34:35], v[52:53], v[124:125]
	;; [unrolled: 1-line block ×6, first 2 shown]
	v_fma_f64 v[48:49], v[99:100], v[48:49], -v[50:51]
	v_fma_f64 v[50:51], v[105:106], v[52:53], -v[54:55]
	v_fma_f64 v[32:33], v[32:33], v[82:83], v[141:142]
	v_fma_f64 v[46:47], v[46:47], v[86:87], v[143:144]
	v_fma_f64 v[52:53], v[101:102], v[56:57], -v[58:59]
	v_fma_f64 v[54:55], v[107:108], v[62:63], -v[64:65]
	v_fma_f64 v[42:43], v[42:43], v[74:75], v[137:138]
	v_fma_f64 v[44:45], v[44:45], v[78:79], v[139:140]
	v_fma_f64 v[56:57], v[109:110], v[66:67], -v[68:69]
	v_fma_f64 v[58:59], v[114:115], v[70:71], -v[72:73]
	;; [unrolled: 1-line block ×6, first 2 shown]
	v_and_b32_e32 v78, 0xffff, v18
	v_and_b32_e32 v79, 0xffff, v19
	v_mul_lo_u16 v23, v16, 57
	v_mul_lo_u16 v24, v15, 57
	v_mul_lo_u16 v126, v14, 57
	v_mul_lo_u16 v127, v22, 57
	v_mul_u32_u24_e32 v132, 0x48, v79
	v_lshrrev_b16 v25, 9, v23
	v_lshrrev_b16 v26, 9, v24
	;; [unrolled: 1-line block ×4, first 2 shown]
	v_lshrrev_b32_e32 v24, 19, v111
	v_mul_lo_u16 v80, v25, 9
	v_mul_u32_u24_e32 v126, 0x48, v78
	v_mul_lo_u16 v81, v22, 9
	v_mul_lo_u16 v82, v23, 9
	;; [unrolled: 1-line block ×3, first 2 shown]
	v_mul_u32_u24_e32 v127, 0x48, v20
	v_sub_nc_u16 v20, v128, v80
	v_add_f64 v[70:71], v[122:123], v[34:35]
	v_sub_nc_u16 v133, v129, v81
	v_add_f64 v[18:19], v[124:125], v[36:37]
	;; [unrolled: 2-line block ×4, first 2 shown]
	ds_load_b64 v[60:61], v92
	ds_load_b64 v[78:79], v10
	;; [unrolled: 1-line block ×4, first 2 shown]
	v_add_f64 v[76:77], v[32:33], v[46:47]
	ds_load_b64 v[86:87], v13
	v_add_f64 v[88:89], v[52:53], v[54:55]
	v_mul_u32_u24_e32 v131, 0x48, v21
	v_add_f64 v[74:75], v[42:43], v[44:45]
	v_and_b32_e32 v21, 0xff, v20
	v_add_f64 v[101:102], v[58:59], v[56:57]
	v_add_f64 v[99:100], v[8:9], v[122:123]
	;; [unrolled: 1-line block ×3, first 2 shown]
	v_add_f64 v[103:104], v[48:49], -v[50:51]
	v_add_f64 v[109:110], v[66:67], v[68:69]
	v_add_f64 v[107:108], v[6:7], v[124:125]
	v_add_f64 v[114:115], v[2:3], v[40:41]
	v_add_f64 v[120:121], v[58:59], -v[56:57]
	v_and_b32_e32 v20, 0xffff, v135
	v_lshlrev_b32_e32 v135, 3, v30
	v_lshlrev_b32_e32 v136, 3, v31
	s_waitcnt lgkmcnt(4)
	v_add_f64 v[30:31], v[60:61], v[48:49]
	s_waitcnt lgkmcnt(2)
	v_add_f64 v[58:59], v[80:81], v[58:59]
	v_add_f64 v[118:119], v[4:5], v[32:33]
	v_add_f64 v[48:49], v[124:125], -v[36:37]
	v_add_f64 v[116:117], v[0:1], v[42:43]
	v_add_f64 v[40:41], v[40:41], -v[38:39]
	v_add_f64 v[42:43], v[42:43], -v[44:45]
	;; [unrolled: 1-line block ×3, first 2 shown]
	v_mul_u32_u24_e32 v111, 0x48, v27
	v_mul_lo_u16 v27, v26, 9
	v_add3_u32 v17, 0, v126, v17
	s_waitcnt lgkmcnt(0)
	s_barrier
	v_fma_f64 v[8:9], v[70:71], -0.5, v[8:9]
	v_add_f64 v[70:71], v[52:53], -v[54:55]
	v_fma_f64 v[6:7], v[18:19], -0.5, v[6:7]
	v_and_b32_e32 v18, 0xff, v133
	v_fma_f64 v[2:3], v[72:73], -0.5, v[2:3]
	v_add_f64 v[72:73], v[62:63], -v[64:65]
	v_and_b32_e32 v19, 0xff, v134
	v_lshlrev_b32_e32 v133, 3, v28
	v_lshlrev_b32_e32 v134, 3, v29
	v_add_f64 v[28:29], v[122:123], -v[34:35]
	v_add_f64 v[52:53], v[78:79], v[52:53]
	v_add_f64 v[62:63], v[82:83], v[62:63]
	v_fma_f64 v[60:61], v[84:85], -0.5, v[60:61]
	v_fma_f64 v[4:5], v[76:77], -0.5, v[4:5]
	;; [unrolled: 1-line block ×4, first 2 shown]
	v_add_f64 v[74:75], v[66:67], -v[68:69]
	v_add_f64 v[66:67], v[86:87], v[66:67]
	v_fma_f64 v[78:79], v[101:102], -0.5, v[80:81]
	v_fma_f64 v[80:81], v[105:106], -0.5, v[82:83]
	;; [unrolled: 1-line block ×3, first 2 shown]
	v_add_f64 v[34:35], v[99:100], v[34:35]
	v_add_f64 v[36:37], v[107:108], v[36:37]
	;; [unrolled: 1-line block ×3, first 2 shown]
	v_sub_nc_u16 v27, v90, v27
	v_add_f64 v[50:51], v[30:31], v[50:51]
	v_lshlrev_b32_e32 v99, 5, v21
	v_add_f64 v[46:47], v[118:119], v[46:47]
	v_lshlrev_b32_e32 v101, 5, v18
	v_add_f64 v[44:45], v[116:117], v[44:45]
	v_and_b32_e32 v27, 0xff, v27
	v_add3_u32 v105, 0, v131, v134
	v_lshlrev_b32_e32 v102, 5, v19
	v_add3_u32 v106, 0, v132, v135
	v_add3_u32 v107, 0, v111, v136
	v_lshlrev_b32_e32 v100, 5, v27
	buffer_gl0_inv
	v_and_b32_e32 v111, 0xffff, v23
	v_fma_f64 v[84:85], v[103:104], s[0:1], v[8:9]
	v_fma_f64 v[8:9], v[103:104], s[2:3], v[8:9]
	;; [unrolled: 1-line block ×6, first 2 shown]
	v_add3_u32 v104, 0, v127, v133
	v_lshlrev_b32_e32 v103, 5, v20
	v_and_b32_e32 v25, 0xffff, v25
	v_and_b32_e32 v26, 0xffff, v26
	v_add_f64 v[52:53], v[52:53], v[54:55]
	v_add_f64 v[54:55], v[58:59], v[56:57]
	;; [unrolled: 1-line block ×3, first 2 shown]
	v_fma_f64 v[62:63], v[28:29], s[2:3], v[60:61]
	v_fma_f64 v[60:61], v[28:29], s[0:1], v[60:61]
	;; [unrolled: 1-line block ×4, first 2 shown]
	v_add_f64 v[58:59], v[66:67], v[68:69]
	v_fma_f64 v[66:67], v[40:41], s[2:3], v[78:79]
	v_fma_f64 v[68:69], v[40:41], s[0:1], v[78:79]
	;; [unrolled: 1-line block ×10, first 2 shown]
	ds_store_2addr_b64 v17, v[34:35], v[84:85] offset1:3
	ds_store_b64 v17, v[8:9] offset:48
	ds_store_2addr_b64 v104, v[36:37], v[86:87] offset1:3
	ds_store_b64 v104, v[6:7] offset:48
	;; [unrolled: 2-line block ×5, first 2 shown]
	s_waitcnt lgkmcnt(0)
	s_barrier
	buffer_gl0_inv
	ds_load_2addr_b64 v[28:31], v93 offset0:59 offset1:122
	ds_load_2addr_b64 v[32:35], v94 offset0:55 offset1:118
	;; [unrolled: 1-line block ×4, first 2 shown]
	ds_load_b64 v[8:9], v92
	ds_load_b64 v[6:7], v10
	;; [unrolled: 1-line block ×4, first 2 shown]
	ds_load_2addr_b64 v[44:47], v98 offset0:51 offset1:114
	ds_load_b64 v[2:3], v13
	s_waitcnt lgkmcnt(0)
	s_barrier
	buffer_gl0_inv
	ds_store_2addr_b64 v17, v[50:51], v[62:63] offset1:3
	ds_store_b64 v17, v[60:61] offset:48
	ds_store_2addr_b64 v104, v[52:53], v[64:65] offset1:3
	ds_store_b64 v104, v[48:49] offset:48
	;; [unrolled: 2-line block ×5, first 2 shown]
	s_waitcnt lgkmcnt(0)
	s_barrier
	buffer_gl0_inv
	s_clause 0x9
	global_load_b128 v[48:51], v99, s[4:5] offset:96
	global_load_b128 v[52:55], v99, s[4:5] offset:112
	;; [unrolled: 1-line block ×10, first 2 shown]
	ds_load_2addr_b64 v[99:102], v93 offset0:59 offset1:122
	ds_load_2addr_b64 v[103:106], v94 offset0:55 offset1:118
	;; [unrolled: 1-line block ×5, first 2 shown]
	v_mul_u32_u24_e32 v111, 0xd8, v111
	s_waitcnt vmcnt(9) lgkmcnt(4)
	v_mul_f64 v[88:89], v[99:100], v[50:51]
	s_waitcnt vmcnt(8) lgkmcnt(3)
	v_mul_f64 v[122:123], v[105:106], v[54:55]
	v_mul_f64 v[50:51], v[28:29], v[50:51]
	s_waitcnt vmcnt(6) lgkmcnt(2)
	v_mul_f64 v[126:127], v[107:108], v[62:63]
	s_waitcnt vmcnt(5)
	v_mul_f64 v[131:132], v[109:110], v[66:67]
	s_waitcnt vmcnt(4) lgkmcnt(1)
	v_mul_f64 v[133:134], v[114:115], v[70:71]
	s_waitcnt vmcnt(3)
	;; [unrolled: 4-line block ×3, first 2 shown]
	v_mul_f64 v[139:140], v[103:104], v[82:83]
	s_waitcnt vmcnt(0)
	v_mul_f64 v[141:142], v[120:121], v[86:87]
	v_mul_f64 v[54:55], v[34:35], v[54:55]
	;; [unrolled: 1-line block ×11, first 2 shown]
	v_fma_f64 v[28:29], v[28:29], v[48:49], v[88:89]
	v_fma_f64 v[88:89], v[34:35], v[52:53], v[122:123]
	v_mul_lo_u16 v34, v15, 19
	v_fma_f64 v[35:36], v[36:37], v[60:61], v[126:127]
	v_fma_f64 v[37:38], v[38:39], v[64:65], v[131:132]
	;; [unrolled: 1-line block ×7, first 2 shown]
	v_fma_f64 v[47:48], v[99:100], v[48:49], -v[50:51]
	v_fma_f64 v[49:50], v[105:106], v[52:53], -v[54:55]
	v_fma_f64 v[30:31], v[30:31], v[56:57], v[124:125]
	v_fma_f64 v[51:52], v[101:102], v[56:57], -v[58:59]
	v_fma_f64 v[53:54], v[107:108], v[60:61], -v[62:63]
	;; [unrolled: 1-line block ×8, first 2 shown]
	v_mul_lo_u16 v73, v14, 19
	v_and_b32_e32 v87, 0xffff, v22
	v_mul_lo_u16 v32, v16, 19
	v_mul_u32_u24_e32 v118, 0xd8, v24
	v_mul_u32_u24_e32 v121, 0xd8, v25
	;; [unrolled: 1-line block ×3, first 2 shown]
	v_lshrrev_b16 v34, 9, v34
	v_lshrrev_b16 v33, 9, v32
	;; [unrolled: 1-line block ×3, first 2 shown]
	v_mul_u32_u24_e32 v87, 0xd8, v87
	s_delay_alu instid0(VALU_DEP_4) | instskip(NEXT) | instid1(VALU_DEP_4)
	v_mul_lo_u16 v119, v34, 27
	v_mul_lo_u16 v73, v33, 27
	s_delay_alu instid0(VALU_DEP_4) | instskip(NEXT) | instid1(VALU_DEP_2)
	v_mul_lo_u16 v120, v32, 27
	v_sub_nc_u16 v26, v128, v73
	v_add_f64 v[67:68], v[28:29], v[88:89]
	ds_load_b64 v[24:25], v92
	ds_load_b64 v[73:74], v10
	;; [unrolled: 1-line block ×5, first 2 shown]
	v_add_f64 v[85:86], v[8:9], v[28:29]
	v_add_f64 v[69:70], v[39:40], v[37:38]
	;; [unrolled: 1-line block ×6, first 2 shown]
	v_add_f64 v[28:29], v[28:29], -v[88:89]
	v_add_f64 v[22:23], v[47:48], v[49:50]
	v_add_f64 v[16:17], v[30:31], v[35:36]
	v_add_f64 v[101:102], v[47:48], -v[49:50]
	v_add_f64 v[79:80], v[51:52], v[53:54]
	v_add_f64 v[105:106], v[6:7], v[30:31]
	;; [unrolled: 1-line block ×5, first 2 shown]
	v_add_f64 v[30:31], v[30:31], -v[35:36]
	v_add_f64 v[103:104], v[63:64], v[65:66]
	v_add_f64 v[116:117], v[63:64], -v[65:66]
	v_add_f64 v[41:42], v[41:42], -v[43:44]
	s_waitcnt lgkmcnt(0)
	s_barrier
	buffer_gl0_inv
	v_fma_f64 v[8:9], v[67:68], -0.5, v[8:9]
	v_add_f64 v[67:68], v[51:52], -v[53:54]
	v_fma_f64 v[4:5], v[69:70], -0.5, v[4:5]
	v_add_f64 v[69:70], v[59:60], -v[61:62]
	v_fma_f64 v[13:14], v[14:15], -0.5, v[0:1]
	v_sub_nc_u16 v1, v90, v119
	v_fma_f64 v[71:72], v[71:72], -0.5, v[2:3]
	v_sub_nc_u16 v2, v129, v120
	v_and_b32_e32 v0, 0xff, v26
	v_lshlrev_b32_e32 v119, 3, v21
	v_lshlrev_b32_e32 v120, 3, v27
	v_add_f64 v[26:27], v[24:25], v[47:48]
	v_add_f64 v[47:48], v[73:74], v[51:52]
	;; [unrolled: 1-line block ×3, first 2 shown]
	v_fma_f64 v[21:22], v[22:23], -0.5, v[24:25]
	v_fma_f64 v[6:7], v[16:17], -0.5, v[6:7]
	v_add_f64 v[16:17], v[57:58], -v[55:56]
	v_add_f64 v[57:58], v[77:78], v[59:60]
	v_add_f64 v[23:24], v[39:40], -v[37:38]
	v_fma_f64 v[39:40], v[79:80], -0.5, v[73:74]
	v_add_f64 v[59:60], v[81:82], v[63:64]
	v_fma_f64 v[63:64], v[83:84], -0.5, v[75:76]
	v_fma_f64 v[75:76], v[99:100], -0.5, v[77:78]
	v_add_f64 v[73:74], v[122:123], -v[45:46]
	v_fma_f64 v[79:80], v[103:104], -0.5, v[81:82]
	v_add_f64 v[77:78], v[85:86], v[88:89]
	v_add_f64 v[35:36], v[105:106], v[35:36]
	;; [unrolled: 1-line block ×5, first 2 shown]
	v_and_b32_e32 v1, 0xff, v1
	v_lshlrev_b32_e32 v85, 6, v0
	v_add3_u32 v86, 0, v121, v119
	v_add3_u32 v99, 0, v124, v120
	v_and_b32_e32 v2, 0xff, v2
	v_lshlrev_b32_e32 v114, 6, v1
	v_fma_f64 v[81:82], v[101:102], s[0:1], v[8:9]
	v_fma_f64 v[8:9], v[101:102], s[2:3], v[8:9]
	v_lshlrev_b32_e32 v0, 3, v0
	v_lshlrev_b32_e32 v1, 3, v1
	v_add_f64 v[26:27], v[26:27], v[49:50]
	v_add_f64 v[47:48], v[47:48], v[53:54]
	;; [unrolled: 1-line block ×3, first 2 shown]
	v_fma_f64 v[55:56], v[28:29], s[2:3], v[21:22]
	v_fma_f64 v[28:29], v[28:29], s[0:1], v[21:22]
	;; [unrolled: 1-line block ×3, first 2 shown]
	v_add_f64 v[51:52], v[57:58], v[61:62]
	v_fma_f64 v[6:7], v[67:68], s[2:3], v[6:7]
	v_fma_f64 v[57:58], v[30:31], s[2:3], v[39:40]
	;; [unrolled: 1-line block ×4, first 2 shown]
	v_add_f64 v[53:54], v[59:60], v[65:66]
	v_fma_f64 v[59:60], v[23:24], s[2:3], v[63:64]
	v_fma_f64 v[3:4], v[16:17], s[2:3], v[4:5]
	;; [unrolled: 1-line block ×11, first 2 shown]
	v_lshlrev_b32_e32 v5, 3, v18
	v_lshlrev_b32_e32 v17, 3, v19
	v_lshlrev_b32_e32 v18, 3, v20
	s_mov_b32 s2, 0x134454ff
	s_mov_b32 s3, 0xbfee6f0e
	v_add3_u32 v87, 0, v87, v5
	v_add3_u32 v17, 0, v111, v17
	;; [unrolled: 1-line block ×3, first 2 shown]
	ds_store_2addr_b64 v86, v[77:78], v[81:82] offset1:9
	ds_store_b64 v86, v[8:9] offset:144
	ds_store_2addr_b64 v99, v[35:36], v[83:84] offset1:9
	ds_store_b64 v99, v[6:7] offset:144
	;; [unrolled: 2-line block ×5, first 2 shown]
	s_waitcnt lgkmcnt(0)
	s_barrier
	buffer_gl0_inv
	ds_load_2addr_b64 v[3:6], v92 offset1:252
	ds_load_2addr_b64 v[22:25], v93 offset0:59 offset1:122
	ds_load_2addr_b64 v[18:21], v94 offset0:55 offset1:118
	ds_load_2addr_b64 v[35:38], v94 offset0:181 offset1:244
	ds_load_b64 v[7:8], v10
	ds_load_2addr_b64 v[39:42], v93 offset0:185 offset1:248
	ds_load_2addr_b64 v[43:46], v98 offset0:51 offset1:114
	ds_load_b64 v[80:81], v12
	ds_load_b64 v[88:89], v11
	s_waitcnt lgkmcnt(0)
	s_barrier
	buffer_gl0_inv
	ds_store_2addr_b64 v86, v[26:27], v[55:56] offset1:9
	ds_store_b64 v86, v[28:29] offset:144
	ds_store_2addr_b64 v99, v[47:48], v[57:58] offset1:9
	ds_store_b64 v99, v[30:31] offset:144
	;; [unrolled: 2-line block ×5, first 2 shown]
	s_waitcnt lgkmcnt(0)
	s_barrier
	buffer_gl0_inv
	s_clause 0x1
	global_load_b128 v[26:29], v85, s[4:5] offset:416
	global_load_b128 v[47:50], v114, s[4:5] offset:416
	v_lshlrev_b32_e32 v9, 6, v2
	s_clause 0x9
	global_load_b128 v[68:71], v85, s[4:5] offset:384
	global_load_b128 v[76:79], v85, s[4:5] offset:400
	;; [unrolled: 1-line block ×10, first 2 shown]
	ds_load_2addr_b64 v[135:138], v94 offset0:55 offset1:118
	ds_load_b64 v[126:127], v12
	ds_load_2addr_b64 v[139:142], v93 offset0:59 offset1:122
	ds_load_2addr_b64 v[143:146], v94 offset0:181 offset1:244
	;; [unrolled: 1-line block ×4, first 2 shown]
	ds_load_2addr_b64 v[12:15], v92 offset1:252
	s_mov_b32 s6, s2
	v_and_b32_e32 v9, 0xffff, v33
	ds_load_b64 v[16:17], v11
	v_lshlrev_b32_e32 v2, 3, v2
	v_cmp_gt_u32_e64 s0, 9, v128
	v_mul_u32_u24_e32 v9, 0x438, v9
	s_waitcnt vmcnt(9) lgkmcnt(6)
	v_mul_f64 v[53:54], v[126:127], v[70:71]
	s_waitcnt vmcnt(8) lgkmcnt(5)
	v_mul_f64 v[55:56], v[141:142], v[78:79]
	;; [unrolled: 2-line block ×3, first 2 shown]
	s_waitcnt vmcnt(6)
	v_mul_f64 v[62:63], v[139:140], v[101:102]
	s_waitcnt vmcnt(5) lgkmcnt(3)
	v_mul_f64 v[66:67], v[147:148], v[105:106]
	v_mul_f64 v[30:31], v[135:136], v[28:29]
	;; [unrolled: 1-line block ×3, first 2 shown]
	s_waitcnt vmcnt(4) lgkmcnt(2)
	v_mul_f64 v[72:73], v[151:152], v[109:110]
	s_waitcnt vmcnt(3) lgkmcnt(1)
	v_mul_f64 v[74:75], v[14:15], v[116:117]
	s_waitcnt vmcnt(2)
	v_mul_f64 v[155:156], v[149:150], v[120:121]
	s_waitcnt vmcnt(1)
	v_mul_f64 v[157:158], v[143:144], v[124:125]
	s_waitcnt vmcnt(0)
	v_mul_f64 v[159:160], v[153:154], v[133:134]
	v_mul_f64 v[161:162], v[18:19], v[28:29]
	;; [unrolled: 1-line block ×12, first 2 shown]
	v_fma_f64 v[60:61], v[24:25], v[76:77], v[55:56]
	v_fma_f64 v[64:65], v[37:38], v[84:85], v[57:58]
	v_mul_f64 v[24:25], v[45:46], v[133:134]
	v_fma_f64 v[56:57], v[39:40], v[103:104], v[66:67]
	v_fma_f64 v[28:29], v[18:19], v[26:27], v[30:31]
	;; [unrolled: 1-line block ×10, first 2 shown]
	v_fma_f64 v[66:67], v[141:142], v[76:77], -v[78:79]
	v_fma_f64 v[18:19], v[145:146], v[84:85], -v[86:87]
	;; [unrolled: 1-line block ×12, first 2 shown]
	v_add_f64 v[5:6], v[60:61], v[28:29]
	v_add_f64 v[35:36], v[56:57], v[20:21]
	v_add_f64 v[26:27], v[52:53], v[64:65]
	v_add_f64 v[41:42], v[3:4], v[52:53]
	v_add_f64 v[49:50], v[88:89], v[30:31]
	v_add_f64 v[24:25], v[82:83], v[62:63]
	v_add_f64 v[47:48], v[7:8], v[82:83]
	v_add_f64 v[37:38], v[72:73], v[74:75]
	v_add_f64 v[39:40], v[30:31], v[80:81]
	v_add_f64 v[103:104], v[64:65], -v[28:29]
	v_add_f64 v[105:106], v[60:61], -v[52:53]
	;; [unrolled: 1-line block ×15, first 2 shown]
	v_fma_f64 v[5:6], v[5:6], -0.5, v[3:4]
	v_fma_f64 v[35:36], v[35:36], -0.5, v[7:8]
	;; [unrolled: 1-line block ×3, first 2 shown]
	v_add_f64 v[26:27], v[78:79], -v[22:23]
	v_add_f64 v[41:42], v[41:42], v[60:61]
	v_fma_f64 v[7:8], v[24:25], -0.5, v[7:8]
	v_add_f64 v[24:25], v[14:15], -v[86:87]
	v_fma_f64 v[37:38], v[37:38], -0.5, v[88:89]
	v_fma_f64 v[39:40], v[39:40], -0.5, v[88:89]
	v_add_f64 v[88:89], v[52:53], -v[60:61]
	v_add_f64 v[47:48], v[47:48], v[56:57]
	v_add_f64 v[49:50], v[49:50], v[72:73]
	v_fma_f64 v[131:132], v[43:44], s[2:3], v[5:6]
	v_fma_f64 v[5:6], v[43:44], s[6:7], v[5:6]
	v_fma_f64 v[133:134], v[45:46], s[6:7], v[3:4]
	v_fma_f64 v[3:4], v[45:46], s[2:3], v[3:4]
	v_fma_f64 v[135:136], v[26:27], s[2:3], v[35:36]
	v_fma_f64 v[137:138], v[99:100], s[6:7], v[7:8]
	v_fma_f64 v[7:8], v[99:100], s[2:3], v[7:8]
	v_fma_f64 v[35:36], v[26:27], s[6:7], v[35:36]
	v_fma_f64 v[139:140], v[101:102], s[2:3], v[37:38]
	v_fma_f64 v[141:142], v[24:25], s[6:7], v[39:40]
	v_fma_f64 v[39:40], v[24:25], s[2:3], v[39:40]
	v_fma_f64 v[37:38], v[101:102], s[6:7], v[37:38]
	v_add_f64 v[88:89], v[88:89], v[103:104]
	v_add_f64 v[103:104], v[105:106], v[107:108]
	;; [unrolled: 1-line block ×9, first 2 shown]
	v_fma_f64 v[116:117], v[45:46], s[12:13], v[131:132]
	v_fma_f64 v[5:6], v[45:46], s[14:15], v[5:6]
	;; [unrolled: 1-line block ×12, first 2 shown]
	v_add_nc_u32_e32 v101, 0x1400, v92
	v_add_f64 v[37:38], v[41:42], v[64:65]
	v_add_f64 v[41:42], v[47:48], v[62:63]
	v_add_f64 v[47:48], v[49:50], v[80:81]
	v_fma_f64 v[49:50], v[88:89], s[16:17], v[116:117]
	v_fma_f64 v[5:6], v[88:89], s[16:17], v[5:6]
	ds_load_b64 v[88:89], v10
	v_fma_f64 v[116:117], v[103:104], s[16:17], v[118:119]
	v_fma_f64 v[3:4], v[103:104], s[16:17], v[3:4]
	v_fma_f64 v[43:44], v[105:106], s[16:17], v[43:44]
	v_fma_f64 v[45:46], v[107:108], s[16:17], v[45:46]
	v_fma_f64 v[7:8], v[107:108], s[16:17], v[7:8]
	v_fma_f64 v[35:36], v[105:106], s[16:17], v[35:36]
	v_fma_f64 v[26:27], v[109:110], s[16:17], v[26:27]
	v_fma_f64 v[105:106], v[114:115], s[16:17], v[99:100]
	v_fma_f64 v[39:40], v[114:115], s[16:17], v[39:40]
	v_fma_f64 v[114:115], v[109:110], s[16:17], v[24:25]
	v_and_b32_e32 v11, 0xffff, v34
	v_and_b32_e32 v24, 0xffff, v32
	v_add3_u32 v104, 0, v9, v0
	v_add_nc_u32_e32 v99, 0x400, v92
	v_add_nc_u32_e32 v100, 0xc00, v92
	v_mul_u32_u24_e32 v11, 0x438, v11
	v_mul_u32_u24_e32 v24, 0x438, v24
	s_waitcnt lgkmcnt(0)
	s_barrier
	buffer_gl0_inv
	v_add3_u32 v103, 0, v11, v1
	v_add3_u32 v102, 0, v24, v2
	ds_store_2addr_b64 v104, v[37:38], v[49:50] offset1:27
	ds_store_2addr_b64 v104, v[116:117], v[3:4] offset0:54 offset1:81
	ds_store_b64 v104, v[5:6] offset:864
	ds_store_2addr_b64 v103, v[41:42], v[43:44] offset1:27
	ds_store_2addr_b64 v103, v[45:46], v[7:8] offset0:54 offset1:81
	ds_store_b64 v103, v[35:36] offset:864
	ds_store_2addr_b64 v102, v[47:48], v[26:27] offset1:27
	ds_store_2addr_b64 v102, v[105:106], v[39:40] offset0:54 offset1:81
	ds_store_b64 v102, v[114:115] offset:864
	s_waitcnt lgkmcnt(0)
	s_barrier
	buffer_gl0_inv
	ds_load_2addr_b64 v[24:27], v92 offset1:135
	ds_load_2addr_b64 v[44:47], v99 offset0:70 offset1:142
	ds_load_2addr_b64 v[40:43], v93 offset0:77 offset1:149
	;; [unrolled: 1-line block ×3, first 2 shown]
	ds_load_b64 v[118:119], v10
	ds_load_b64 v[124:125], v92 offset:6984
	ds_load_2addr_b64 v[36:39], v94 offset0:91 offset1:163
	ds_load_2addr_b64 v[48:51], v101 offset0:98 offset1:170
	v_sub_nc_u32_e32 v0, 0, v97
                                        ; implicit-def: $vgpr6_vgpr7
                                        ; implicit-def: $vgpr2_vgpr3
                                        ; implicit-def: $vgpr10_vgpr11
	s_delay_alu instid0(VALU_DEP_1)
	v_add_nc_u32_e32 v95, v95, v0
	s_and_saveexec_b32 s1, s0
	s_cbranch_execz .LBB0_15
; %bb.14:
	ds_load_b64 v[114:115], v95
	ds_load_2addr_b64 v[8:11], v93 offset0:5 offset1:140
	ds_load_2addr_b64 v[0:3], v94 offset0:19 offset1:154
	;; [unrolled: 1-line block ×3, first 2 shown]
.LBB0_15:
	s_or_b32 exec_lo, exec_lo, s1
	v_add_f64 v[97:98], v[66:67], v[54:55]
	v_add_f64 v[105:106], v[76:77], v[18:19]
	;; [unrolled: 1-line block ×7, first 2 shown]
	v_add_f64 v[52:53], v[52:53], -v[64:65]
	v_add_f64 v[28:29], v[60:61], -v[28:29]
	v_add_f64 v[60:61], v[88:89], v[78:79]
	v_add_f64 v[64:65], v[16:17], v[70:71]
	v_add_f64 v[62:63], v[82:83], -v[62:63]
	v_add_f64 v[20:21], v[56:57], -v[20:21]
	;; [unrolled: 1-line block ×8, first 2 shown]
	s_waitcnt lgkmcnt(0)
	s_barrier
	buffer_gl0_inv
	v_fma_f64 v[97:98], v[97:98], -0.5, v[12:13]
	v_fma_f64 v[12:13], v[105:106], -0.5, v[12:13]
	;; [unrolled: 1-line block ×6, first 2 shown]
	v_add_f64 v[88:89], v[18:19], -v[54:55]
	v_add_f64 v[120:121], v[70:71], -v[14:15]
	;; [unrolled: 1-line block ×3, first 2 shown]
	v_add_f64 v[66:67], v[122:123], v[66:67]
	v_add_f64 v[60:61], v[60:61], v[68:69]
	;; [unrolled: 1-line block ×3, first 2 shown]
	v_add_f64 v[105:106], v[54:55], -v[18:19]
	v_add_f64 v[107:108], v[78:79], -v[68:69]
	;; [unrolled: 1-line block ×5, first 2 shown]
	v_fma_f64 v[64:65], v[52:53], s[6:7], v[97:98]
	v_fma_f64 v[68:69], v[52:53], s[2:3], v[97:98]
	;; [unrolled: 1-line block ×12, first 2 shown]
	v_add_f64 v[82:83], v[82:83], v[88:89]
	v_add_f64 v[54:55], v[66:67], v[54:55]
	;; [unrolled: 1-line block ×9, first 2 shown]
	v_fma_f64 v[60:61], v[28:29], s[14:15], v[64:65]
	v_fma_f64 v[28:29], v[28:29], s[12:13], v[68:69]
	;; [unrolled: 1-line block ×12, first 2 shown]
	v_add_nc_u32_e32 v72, v91, v96
	v_add_f64 v[18:19], v[54:55], v[18:19]
	v_add_f64 v[22:23], v[58:59], v[22:23]
	;; [unrolled: 1-line block ×3, first 2 shown]
	v_fma_f64 v[54:55], v[82:83], s[16:17], v[60:61]
	v_fma_f64 v[28:29], v[82:83], s[16:17], v[28:29]
	v_fma_f64 v[58:59], v[76:77], s[16:17], v[64:65]
	v_fma_f64 v[12:13], v[76:77], s[16:17], v[12:13]
	v_fma_f64 v[52:53], v[88:89], s[16:17], v[52:53]
	v_fma_f64 v[20:21], v[88:89], s[16:17], v[20:21]
	v_fma_f64 v[56:57], v[78:79], s[16:17], v[56:57]
	v_fma_f64 v[60:61], v[78:79], s[16:17], v[62:63]
	v_fma_f64 v[62:63], v[105:106], s[16:17], v[66:67]
	v_fma_f64 v[64:65], v[70:71], s[16:17], v[68:69]
	v_fma_f64 v[16:17], v[70:71], s[16:17], v[16:17]
	v_fma_f64 v[116:117], v[105:106], s[16:17], v[30:31]
	ds_store_2addr_b64 v104, v[18:19], v[54:55] offset1:27
	ds_store_2addr_b64 v104, v[58:59], v[12:13] offset0:54 offset1:81
	ds_store_b64 v104, v[28:29] offset:864
	ds_store_2addr_b64 v103, v[22:23], v[52:53] offset1:27
	ds_store_2addr_b64 v103, v[56:57], v[60:61] offset0:54 offset1:81
	ds_store_b64 v103, v[20:21] offset:864
	;; [unrolled: 3-line block ×3, first 2 shown]
	s_waitcnt lgkmcnt(0)
	s_barrier
	buffer_gl0_inv
	ds_load_2addr_b64 v[28:31], v92 offset1:135
	ds_load_2addr_b64 v[64:67], v99 offset0:70 offset1:142
	ds_load_2addr_b64 v[60:63], v93 offset0:77 offset1:149
	;; [unrolled: 1-line block ×5, first 2 shown]
	ds_load_b64 v[120:121], v72
	ds_load_b64 v[126:127], v92 offset:6984
                                        ; implicit-def: $vgpr18_vgpr19
                                        ; implicit-def: $vgpr14_vgpr15
                                        ; implicit-def: $vgpr22_vgpr23
	s_and_saveexec_b32 s1, s0
	s_cbranch_execz .LBB0_17
; %bb.16:
	v_add_nc_u32_e32 v12, 0x800, v92
	v_add_nc_u32_e32 v13, 0x1000, v92
	;; [unrolled: 1-line block ×3, first 2 shown]
	ds_load_b64 v[116:117], v95
	ds_load_2addr_b64 v[20:23], v12 offset0:5 offset1:140
	ds_load_2addr_b64 v[12:15], v13 offset0:19 offset1:154
	;; [unrolled: 1-line block ×3, first 2 shown]
.LBB0_17:
	s_or_b32 exec_lo, exec_lo, s1
	s_and_saveexec_b32 s1, vcc_lo
	s_cbranch_execz .LBB0_20
; %bb.18:
	v_mul_u32_u24_e32 v72, 6, v128
	v_mul_i32_i24_e32 v122, 6, v90
	v_mad_u64_u32 v[141:142], null, s8, v130, 0
	v_mad_u64_u32 v[139:140], null, s8, v128, 0
	s_delay_alu instid0(VALU_DEP_4)
	v_dual_mov_b32 v123, 0 :: v_dual_lshlrev_b32 v74, 4, v72
	v_add_nc_u32_e32 v177, 0x10e, v128
	s_mov_b32 s6, 0xe976ee23
	s_mov_b32 s16, 0x37e14327
	s_clause 0x1
	global_load_b128 v[108:111], v74, s[4:5] offset:2192
	global_load_b128 v[104:107], v74, s[4:5] offset:2128
	v_lshlrev_b64 v[72:73], 4, v[122:123]
	s_clause 0x1
	global_load_b128 v[131:134], v74, s[4:5] offset:2176
	global_load_b128 v[135:138], v74, s[4:5] offset:2112
	v_add_nc_u32_e32 v122, 0x87, v128
	s_mov_b32 s7, 0x3fe11646
	s_mov_b32 s17, 0x3fe948f6
	;; [unrolled: 1-line block ×3, first 2 shown]
	v_add_co_u32 v72, vcc_lo, s4, v72
	v_add_co_ci_u32_e32 v73, vcc_lo, s5, v73, vcc_lo
	s_clause 0x7
	global_load_b128 v[100:103], v[72:73], off offset:2176
	global_load_b128 v[88:91], v[72:73], off offset:2112
	;; [unrolled: 1-line block ×4, first 2 shown]
	global_load_b128 v[84:87], v74, s[4:5] offset:2144
	global_load_b128 v[80:83], v74, s[4:5] offset:2160
	global_load_b128 v[76:79], v[72:73], off offset:2144
	global_load_b128 v[72:75], v[72:73], off offset:2160
	s_mov_b32 s14, 0x36b3c0b5
	s_mov_b32 s27, 0xbfebfeb5
	;; [unrolled: 1-line block ×15, first 2 shown]
	s_waitcnt vmcnt(11)
	v_mul_f64 v[143:144], v[50:51], v[108:109]
	v_mul_f64 v[145:146], v[50:51], v[110:111]
	v_add_co_u32 v50, vcc_lo, s10, v112
	v_add_co_ci_u32_e32 v51, vcc_lo, s11, v113, vcc_lo
	s_waitcnt vmcnt(10)
	v_mul_f64 v[112:113], v[46:47], v[104:105]
	v_mul_f64 v[46:47], v[46:47], v[106:107]
	s_waitcnt vmcnt(9)
	v_mul_f64 v[147:148], v[38:39], v[133:134]
	s_waitcnt vmcnt(8)
	v_mul_f64 v[149:150], v[26:27], v[137:138]
	v_mul_f64 v[38:39], v[38:39], v[131:132]
	;; [unrolled: 1-line block ×3, first 2 shown]
	s_waitcnt vmcnt(7)
	v_mul_f64 v[157:158], v[48:49], v[100:101]
	v_mul_f64 v[48:49], v[48:49], v[102:103]
	s_waitcnt vmcnt(6)
	v_mul_f64 v[159:160], v[44:45], v[90:91]
	s_waitcnt vmcnt(5)
	;; [unrolled: 2-line block ×3, first 2 shown]
	v_mul_f64 v[163:164], v[124:125], v[98:99]
	v_mul_f64 v[44:45], v[44:45], v[88:89]
	;; [unrolled: 1-line block ×4, first 2 shown]
	s_waitcnt vmcnt(3)
	v_mul_f64 v[173:174], v[42:43], v[84:85]
	v_mul_f64 v[42:43], v[42:43], v[86:87]
	s_waitcnt vmcnt(2)
	v_mul_f64 v[175:176], v[34:35], v[80:81]
	v_mul_f64 v[34:35], v[34:35], v[82:83]
	s_waitcnt lgkmcnt(2)
	v_fma_f64 v[110:111], v[70:71], v[110:111], v[143:144]
	v_fma_f64 v[70:71], v[70:71], v[108:109], -v[145:146]
	v_fma_f64 v[106:107], v[66:67], v[106:107], v[112:113]
	v_fma_f64 v[46:47], v[66:67], v[104:105], -v[46:47]
	v_fma_f64 v[104:105], v[58:59], v[131:132], -v[147:148]
	;; [unrolled: 1-line block ×3, first 2 shown]
	v_fma_f64 v[38:39], v[58:59], v[133:134], v[38:39]
	v_fma_f64 v[26:27], v[30:31], v[137:138], v[26:27]
	s_waitcnt vmcnt(1)
	v_mul_f64 v[30:31], v[32:33], v[76:77]
	s_waitcnt vmcnt(0)
	v_mul_f64 v[58:59], v[36:37], v[72:73]
	v_mul_f64 v[32:33], v[32:33], v[78:79]
	;; [unrolled: 1-line block ×3, first 2 shown]
	v_fma_f64 v[102:103], v[68:69], v[102:103], v[157:158]
	v_fma_f64 v[48:49], v[68:69], v[100:101], -v[48:49]
	v_fma_f64 v[68:69], v[64:65], v[88:89], -v[159:160]
	;; [unrolled: 1-line block ×3, first 2 shown]
	s_waitcnt lgkmcnt(0)
	v_fma_f64 v[92:93], v[126:127], v[96:97], -v[163:164]
	v_fma_f64 v[44:45], v[64:65], v[90:91], v[44:45]
	v_mov_b32_e32 v91, v142
	v_fma_f64 v[40:41], v[60:61], v[94:95], v[40:41]
	v_fma_f64 v[60:61], v[126:127], v[98:99], v[124:125]
	v_mad_u64_u32 v[151:152], null, s8, v122, 0
	v_dual_mov_b32 v90, v140 :: v_dual_add_nc_u32 v179, 0x21c, v128
	v_mad_u64_u32 v[153:154], null, s8, v177, 0
	v_add_nc_u32_e32 v178, 0x195, v128
	v_fma_f64 v[86:87], v[62:63], v[86:87], v[173:174]
	s_delay_alu instid0(VALU_DEP_4)
	v_mad_u64_u32 v[96:97], null, s9, v128, v[90:91]
	v_mov_b32_e32 v90, v152
	v_mad_u64_u32 v[165:166], null, s8, v179, 0
	v_mov_b32_e32 v97, v154
	v_fma_f64 v[82:83], v[54:55], v[82:83], v[175:176]
	v_fma_f64 v[42:43], v[62:63], v[84:85], -v[42:43]
	v_fma_f64 v[34:35], v[54:55], v[80:81], -v[34:35]
	v_add_nc_u32_e32 v180, 0x2a3, v128
	v_mad_u64_u32 v[155:156], null, s8, v178, 0
	v_mov_b32_e32 v55, v166
	v_add_f64 v[84:85], v[46:47], v[104:105]
	v_add_f64 v[98:99], v[112:113], v[70:71]
	;; [unrolled: 1-line block ×4, first 2 shown]
	v_fma_f64 v[30:31], v[52:53], v[78:79], v[30:31]
	v_fma_f64 v[58:59], v[56:57], v[74:75], v[58:59]
	v_fma_f64 v[32:33], v[52:53], v[76:77], -v[32:33]
	v_fma_f64 v[36:37], v[56:57], v[72:73], -v[36:37]
	v_dual_mov_b32 v54, v156 :: v_dual_add_nc_u32 v181, 0x32a, v128
	v_mad_u64_u32 v[167:168], null, s8, v180, 0
	v_add_f64 v[72:73], v[88:89], v[48:49]
	v_add_f64 v[74:75], v[68:69], v[92:93]
	v_add_nc_u32_e32 v183, 0x14d, v128
	v_add_f64 v[76:77], v[40:41], v[102:103]
	v_add_f64 v[78:79], v[44:45], v[60:61]
	v_mad_u64_u32 v[169:170], null, s8, v181, 0
	v_mov_b32_e32 v62, v168
	v_add_nc_u32_e32 v182, 0xc6, v128
	v_mad_u64_u32 v[108:109], null, s8, v183, 0
	v_add_nc_u32_e32 v184, 0x1d4, v128
	v_mad_u64_u32 v[80:81], null, s9, v130, v[91:92]
	v_mov_b32_e32 v63, v170
	v_mad_u64_u32 v[171:172], null, s8, v182, 0
	v_mov_b32_e32 v53, v109
	v_add_nc_u32_e32 v185, 0x25b, v128
	v_mad_u64_u32 v[66:67], null, s8, v184, 0
	v_add_nc_u32_e32 v187, 0x369, v128
	v_add_f64 v[40:41], v[40:41], -v[102:103]
	v_mov_b32_e32 v52, v172
	v_mad_u64_u32 v[131:132], null, s8, v185, 0
	v_add_nc_u32_e32 v186, 0x2e2, v128
	v_mov_b32_e32 v56, v67
	v_add_f64 v[38:39], v[106:107], -v[38:39]
	v_add_f64 v[106:107], v[82:83], -v[86:87]
	v_add_f64 v[81:82], v[82:83], v[86:87]
	v_add_f64 v[102:103], v[58:59], -v[30:31]
	v_mov_b32_e32 v57, v132
	v_mad_u64_u32 v[132:133], null, s9, v178, v[54:55]
	v_mad_u64_u32 v[64:65], null, s8, v186, 0
	v_mad_u64_u32 v[133:134], null, s9, v179, v[55:56]
	v_mad_u64_u32 v[54:55], null, s9, v180, v[62:63]
	v_add_f64 v[30:31], v[58:59], v[30:31]
	v_add_f64 v[58:59], v[36:37], v[32:33]
	;; [unrolled: 1-line block ×3, first 2 shown]
	v_add_f64 v[34:35], v[34:35], -v[42:43]
	v_add_f64 v[42:43], v[46:47], -v[104:105]
	;; [unrolled: 1-line block ×3, first 2 shown]
	v_add_f64 v[104:105], v[84:85], v[98:99]
	v_add_f64 v[109:110], v[100:101], v[124:125]
	v_add_f64 v[70:71], v[112:113], -v[70:71]
	v_mad_u64_u32 v[26:27], null, s9, v181, v[63:64]
	v_mad_u64_u32 v[62:63], null, s9, v182, v[52:53]
	v_add_f64 v[32:33], v[36:37], -v[32:33]
	v_add_f64 v[36:37], v[88:89], -v[48:49]
	;; [unrolled: 1-line block ×4, first 2 shown]
	v_mad_u64_u32 v[60:61], null, s9, v183, v[53:54]
	v_add_f64 v[52:53], v[72:73], v[74:75]
	v_mad_u64_u32 v[68:69], null, s9, v184, v[56:57]
	v_add_f64 v[55:56], v[76:77], v[78:79]
	v_mad_u64_u32 v[94:95], null, s8, v187, 0
	v_mad_u64_u32 v[126:127], null, s9, v122, v[90:91]
	;; [unrolled: 1-line block ×4, first 2 shown]
	s_delay_alu instid0(VALU_DEP_4)
	v_dual_mov_b32 v67, v95 :: v_dual_mov_b32 v140, v96
	v_mov_b32_e32 v142, v80
	v_mov_b32_e32 v152, v126
	;; [unrolled: 1-line block ×3, first 2 shown]
	v_add_f64 v[126:127], v[124:125], -v[81:82]
	v_lshlrev_b64 v[96:97], 4, v[139:140]
	v_mov_b32_e32 v65, v91
	v_mad_u64_u32 v[88:89], null, s9, v185, v[57:58]
	v_add_f64 v[89:90], v[106:107], -v[38:39]
	v_add_f64 v[111:112], v[98:99], -v[86:87]
	;; [unrolled: 1-line block ×3, first 2 shown]
	v_lshlrev_b64 v[140:141], 4, v[141:142]
	v_add_f64 v[104:105], v[86:87], v[104:105]
	v_add_f64 v[142:143], v[81:82], v[109:110]
	v_add_f64 v[136:137], v[38:39], -v[46:47]
	v_add_f64 v[138:139], v[42:43], -v[70:71]
	;; [unrolled: 1-line block ×4, first 2 shown]
	v_mov_b32_e32 v168, v54
	v_add_f64 v[82:83], v[102:103], -v[40:41]
	v_add_f64 v[144:145], v[74:75], -v[58:59]
	;; [unrolled: 1-line block ×5, first 2 shown]
	v_add_f64 v[52:53], v[58:59], v[52:53]
	v_add_f64 v[57:58], v[58:59], -v[72:73]
	v_mov_b32_e32 v172, v62
	v_add_f64 v[54:55], v[30:31], v[55:56]
	v_add_f64 v[61:62], v[36:37], -v[48:49]
	v_mov_b32_e32 v109, v60
	v_add_f64 v[59:60], v[30:31], -v[76:77]
	v_mad_u64_u32 v[92:93], null, s9, v187, v[67:68]
	v_mov_b32_e32 v67, v68
	v_mov_b32_e32 v156, v132
	;; [unrolled: 1-line block ×4, first 2 shown]
	v_add_f64 v[38:39], v[106:107], v[38:39]
	v_add_f64 v[106:107], v[46:47], -v[106:107]
	v_add_f64 v[42:43], v[34:35], v[42:43]
	v_add_f64 v[34:35], v[70:71], -v[34:35]
	v_add_f64 v[40:41], v[102:103], v[40:41]
	v_add_f64 v[36:37], v[32:33], v[36:37]
	v_add_f64 v[84:85], v[84:85], -v[98:99]
	v_dual_mov_b32 v166, v133 :: v_dual_mov_b32 v95, v92
	v_mul_f64 v[88:89], v[89:90], s[6:7]
	v_mul_f64 v[110:111], v[111:112], s[16:17]
	;; [unrolled: 1-line block ×4, first 2 shown]
	v_add_f64 v[26:27], v[28:29], v[104:105]
	v_add_f64 v[24:25], v[24:25], v[142:143]
	v_lshlrev_b64 v[68:69], 4, v[151:152]
	v_mul_f64 v[133:134], v[136:137], s[26:27]
	v_mul_f64 v[150:151], v[138:139], s[26:27]
	v_add_f64 v[98:99], v[100:101], -v[124:125]
	v_add_f64 v[100:101], v[44:45], -v[102:103]
	v_mul_f64 v[102:103], v[86:87], s[14:15]
	v_mul_f64 v[124:125], v[80:81], s[14:15]
	v_add_f64 v[32:33], v[48:49], -v[32:33]
	v_mul_f64 v[82:83], v[82:83], s[6:7]
	v_mul_f64 v[144:145], v[144:145], s[16:17]
	;; [unrolled: 1-line block ×4, first 2 shown]
	v_add_f64 v[30:31], v[120:121], v[52:53]
	v_add_f64 v[72:73], v[72:73], -v[74:75]
	v_mul_f64 v[74:75], v[57:58], s[14:15]
	v_add_f64 v[28:29], v[118:119], v[54:55]
	v_lshlrev_b64 v[91:92], 4, v[153:154]
	v_mul_f64 v[152:153], v[157:158], s[26:27]
	v_mul_f64 v[159:160], v[61:62], s[26:27]
	v_add_f64 v[76:77], v[76:77], -v[78:79]
	v_mul_f64 v[78:79], v[59:60], s[14:15]
	v_lshlrev_b64 v[161:162], 4, v[165:166]
	v_lshlrev_b64 v[165:166], 4, v[66:67]
	v_add_f64 v[38:39], v[38:39], v[46:47]
	v_lshlrev_b64 v[93:94], 4, v[94:95]
	v_add_f64 v[42:43], v[42:43], v[70:71]
	v_add_co_u32 v95, vcc_lo, v50, v96
	v_add_f64 v[40:41], v[40:41], v[44:45]
	v_add_f64 v[36:37], v[36:37], v[48:49]
	v_add_co_ci_u32_e32 v96, vcc_lo, v51, v97, vcc_lo
	v_fma_f64 v[44:45], v[106:107], s[12:13], v[88:89]
	v_fma_f64 v[46:47], v[86:87], s[14:15], v[110:111]
	;; [unrolled: 1-line block ×4, first 2 shown]
	v_fma_f64 v[80:81], v[136:137], s[26:27], -v[88:89]
	v_fma_f64 v[88:89], v[84:85], s[22:23], -v[110:111]
	v_fma_f64 v[104:105], v[104:105], s[18:19], v[26:27]
	v_fma_f64 v[110:111], v[142:143], s[18:19], v[24:25]
	v_fma_f64 v[70:71], v[106:107], s[24:25], -v[133:134]
	v_fma_f64 v[34:35], v[34:35], s[24:25], -v[150:151]
	;; [unrolled: 1-line block ×6, first 2 shown]
	v_fma_f64 v[102:103], v[100:101], s[12:13], v[82:83]
	v_fma_f64 v[56:57], v[57:58], s[14:15], v[144:145]
	v_fma_f64 v[58:59], v[59:60], s[14:15], v[146:147]
	v_fma_f64 v[112:113], v[32:33], s[12:13], v[148:149]
	v_fma_f64 v[82:83], v[157:158], s[26:27], -v[82:83]
	v_fma_f64 v[60:61], v[61:62], s[26:27], -v[148:149]
	v_fma_f64 v[52:53], v[52:53], s[18:19], v[30:31]
	v_fma_f64 v[62:63], v[72:73], s[22:23], -v[144:145]
	v_fma_f64 v[72:73], v[72:73], s[20:21], -v[74:75]
	v_fma_f64 v[54:55], v[54:55], s[18:19], v[28:29]
	v_fma_f64 v[100:101], v[100:101], s[24:25], -v[152:153]
	v_fma_f64 v[32:33], v[32:33], s[24:25], -v[159:160]
	v_fma_f64 v[74:75], v[76:77], s[22:23], -v[146:147]
	v_fma_f64 v[76:77], v[76:77], s[20:21], -v[78:79]
	v_add_co_u32 v126, vcc_lo, v50, v140
	v_add_co_ci_u32_e32 v127, vcc_lo, v51, v141, vcc_lo
	v_lshlrev_b64 v[130:131], 4, v[131:132]
	v_add_co_u32 v132, vcc_lo, v50, v68
	v_lshlrev_b64 v[124:125], 4, v[64:65]
	v_add_co_ci_u32_e32 v133, vcc_lo, v51, v69, vcc_lo
	v_fma_f64 v[64:65], v[38:39], s[2:3], v[44:45]
	v_lshlrev_b64 v[154:155], 4, v[155:156]
	v_add_co_u32 v90, vcc_lo, v50, v91
	v_fma_f64 v[66:67], v[42:43], s[2:3], v[66:67]
	v_fma_f64 v[44:45], v[38:39], s[2:3], v[80:81]
	v_add_f64 v[80:81], v[46:47], v[104:105]
	v_add_f64 v[48:49], v[48:49], v[110:111]
	v_fma_f64 v[68:69], v[38:39], s[2:3], v[70:71]
	v_fma_f64 v[70:71], v[42:43], s[2:3], v[34:35]
	v_fma_f64 v[78:79], v[42:43], s[2:3], v[86:87]
	v_add_f64 v[86:87], v[88:89], v[104:105]
	v_add_f64 v[88:89], v[106:107], v[110:111]
	;; [unrolled: 1-line block ×4, first 2 shown]
	v_fma_f64 v[97:98], v[40:41], s[2:3], v[102:103]
	v_add_co_ci_u32_e32 v91, vcc_lo, v51, v92, vcc_lo
	v_fma_f64 v[102:103], v[36:37], s[2:3], v[112:113]
	v_fma_f64 v[82:83], v[40:41], s[2:3], v[82:83]
	v_add_f64 v[106:107], v[56:57], v[52:53]
	v_add_f64 v[110:111], v[62:63], v[52:53]
	;; [unrolled: 1-line block ×4, first 2 shown]
	v_fma_f64 v[99:100], v[40:41], s[2:3], v[100:101]
	v_fma_f64 v[104:105], v[36:37], s[2:3], v[32:33]
	v_add_f64 v[134:135], v[74:75], v[54:55]
	v_fma_f64 v[60:61], v[36:37], s[2:3], v[60:61]
	v_add_f64 v[136:137], v[76:77], v[54:55]
	v_lshlrev_b64 v[118:119], 4, v[167:168]
	v_add_co_u32 v138, vcc_lo, v50, v154
	v_add_co_ci_u32_e32 v139, vcc_lo, v51, v155, vcc_lo
	v_lshlrev_b64 v[120:121], 4, v[169:170]
	v_add_co_u32 v140, vcc_lo, v50, v161
	v_add_co_ci_u32_e32 v141, vcc_lo, v51, v162, vcc_lo
	;; [unrolled: 3-line block ×3, first 2 shown]
	v_add_f64 v[58:59], v[80:81], -v[64:65]
	v_add_f64 v[56:57], v[66:67], v[48:49]
	v_add_f64 v[34:35], v[64:65], v[80:81]
	v_add_f64 v[32:33], v[48:49], -v[66:67]
	v_lshlrev_b64 v[108:109], 4, v[108:109]
	v_add_f64 v[54:55], v[86:87], -v[68:69]
	v_add_f64 v[52:53], v[70:71], v[88:89]
	v_add_f64 v[42:43], v[46:47], -v[44:45]
	v_add_f64 v[46:47], v[44:45], v[46:47]
	;; [unrolled: 2-line block ×3, first 2 shown]
	v_add_f64 v[38:39], v[68:69], v[86:87]
	v_add_f64 v[36:37], v[88:89], -v[70:71]
	v_add_co_u32 v120, vcc_lo, v50, v120
	v_add_f64 v[62:63], v[97:98], v[106:107]
	v_add_f64 v[70:71], v[72:73], -v[82:83]
	v_add_f64 v[74:75], v[82:83], v[72:73]
	v_add_f64 v[82:83], v[106:107], -v[97:98]
	;; [unrolled: 2-line block ×4, first 2 shown]
	v_add_f64 v[68:69], v[60:61], v[136:137]
	v_add_f64 v[66:67], v[99:100], v[110:111]
	v_add_f64 v[64:65], v[134:135], -v[104:105]
	v_add_f64 v[60:61], v[112:113], -v[102:103]
	v_add_co_ci_u32_e32 v121, vcc_lo, v51, v121, vcc_lo
	v_add_co_u32 v48, vcc_lo, v50, v163
	v_add_co_ci_u32_e32 v49, vcc_lo, v51, v164, vcc_lo
	v_add_co_u32 v84, vcc_lo, v50, v108
	;; [unrolled: 2-line block ×6, first 2 shown]
	v_add_co_ci_u32_e32 v93, vcc_lo, v51, v94, vcc_lo
	s_clause 0xd
	global_store_b128 v[95:96], v[24:27], off
	global_store_b128 v[132:133], v[56:59], off
	;; [unrolled: 1-line block ×14, first 2 shown]
	s_and_b32 exec_lo, exec_lo, s0
	s_cbranch_execz .LBB0_20
; %bb.19:
	v_add_nc_u32_e32 v24, -9, v128
	v_add_nc_u32_e32 v66, 0x3a8, v128
	v_add_nc_u32_e32 v64, 0x29a, v128
	;; [unrolled: 1-line block ×4, first 2 shown]
	v_cndmask_b32_e64 v24, v24, v129, s0
	s_delay_alu instid0(VALU_DEP_1) | instskip(NEXT) | instid1(VALU_DEP_1)
	v_mul_i32_i24_e32 v122, 6, v24
	v_lshlrev_b64 v[24:25], 4, v[122:123]
	s_delay_alu instid0(VALU_DEP_1) | instskip(NEXT) | instid1(VALU_DEP_2)
	v_add_co_u32 v44, vcc_lo, s4, v24
	v_add_co_ci_u32_e32 v45, vcc_lo, s5, v25, vcc_lo
	s_clause 0x5
	global_load_b128 v[24:27], v[44:45], off offset:2112
	global_load_b128 v[28:31], v[44:45], off offset:2128
	;; [unrolled: 1-line block ×6, first 2 shown]
	s_waitcnt vmcnt(5)
	v_mul_f64 v[48:49], v[20:21], v[26:27]
	v_mul_f64 v[26:27], v[8:9], v[26:27]
	s_waitcnt vmcnt(4)
	v_mul_f64 v[52:53], v[22:23], v[30:31]
	v_mul_f64 v[30:31], v[10:11], v[30:31]
	;; [unrolled: 3-line block ×6, first 2 shown]
	v_fma_f64 v[8:9], v[8:9], v[24:25], v[48:49]
	v_fma_f64 v[20:21], v[20:21], v[24:25], -v[26:27]
	v_fma_f64 v[10:11], v[10:11], v[28:29], v[52:53]
	v_fma_f64 v[22:23], v[22:23], v[28:29], -v[30:31]
	;; [unrolled: 2-line block ×6, first 2 shown]
	v_mad_u64_u32 v[48:49], null, s8, v66, 0
	v_add_nc_u32_e32 v61, 0x105, v128
	v_add_nc_u32_e32 v62, 0x18c, v128
	v_add_f64 v[24:25], v[8:9], v[6:7]
	v_add_f64 v[26:27], v[20:21], v[18:19]
	;; [unrolled: 1-line block ×4, first 2 shown]
	v_add_f64 v[4:5], v[10:11], -v[4:5]
	v_add_f64 v[10:11], v[22:23], -v[16:17]
	v_add_f64 v[16:17], v[0:1], v[2:3]
	v_add_f64 v[22:23], v[12:13], v[14:15]
	v_add_f64 v[0:1], v[2:3], -v[0:1]
	v_add_f64 v[2:3], v[14:15], -v[12:13]
	;; [unrolled: 1-line block ×4, first 2 shown]
	v_add_f64 v[12:13], v[28:29], v[24:25]
	v_add_f64 v[14:15], v[30:31], v[26:27]
	v_add_f64 v[18:19], v[24:25], -v[16:17]
	v_add_f64 v[20:21], v[26:27], -v[22:23]
	;; [unrolled: 1-line block ×6, first 2 shown]
	v_add_f64 v[4:5], v[0:1], v[4:5]
	v_add_f64 v[10:11], v[2:3], v[10:11]
	v_add_f64 v[40:41], v[6:7], -v[0:1]
	v_add_f64 v[42:43], v[8:9], -v[2:3]
	;; [unrolled: 1-line block ×4, first 2 shown]
	v_add_f64 v[12:13], v[16:17], v[12:13]
	v_add_f64 v[14:15], v[22:23], v[14:15]
	v_add_f64 v[16:17], v[16:17], -v[28:29]
	v_add_f64 v[22:23], v[22:23], -v[30:31]
	v_mul_f64 v[18:19], v[18:19], s[16:17]
	v_mul_f64 v[20:21], v[20:21], s[16:17]
	;; [unrolled: 1-line block ×6, first 2 shown]
	v_add_f64 v[4:5], v[4:5], v[6:7]
	v_add_f64 v[6:7], v[10:11], v[8:9]
	v_add_f64 v[0:1], v[114:115], v[12:13]
	v_add_f64 v[2:3], v[116:117], v[14:15]
	v_mul_f64 v[28:29], v[16:17], s[14:15]
	v_mul_f64 v[30:31], v[22:23], s[14:15]
	v_fma_f64 v[8:9], v[16:17], s[14:15], v[18:19]
	v_fma_f64 v[10:11], v[22:23], s[14:15], v[20:21]
	;; [unrolled: 1-line block ×4, first 2 shown]
	v_fma_f64 v[32:33], v[36:37], s[26:27], -v[32:33]
	v_fma_f64 v[34:35], v[38:39], s[26:27], -v[34:35]
	;; [unrolled: 1-line block ×6, first 2 shown]
	v_mad_u64_u32 v[44:45], null, s8, v64, 0
	v_add_nc_u32_e32 v60, 0x7e, v128
	v_mad_u64_u32 v[42:43], null, s8, v63, 0
	v_mad_u64_u32 v[46:47], null, s8, v65, 0
	v_fma_f64 v[12:13], v[12:13], s[18:19], v[0:1]
	v_fma_f64 v[14:15], v[14:15], s[18:19], v[2:3]
	v_fma_f64 v[24:25], v[24:25], s[20:21], -v[28:29]
	v_fma_f64 v[26:27], v[26:27], s[20:21], -v[30:31]
	v_mad_u64_u32 v[30:31], null, s8, v61, 0
	v_fma_f64 v[52:53], v[4:5], s[2:3], v[16:17]
	v_fma_f64 v[54:55], v[6:7], s[2:3], v[22:23]
	;; [unrolled: 1-line block ×6, first 2 shown]
	v_mov_b32_e32 v7, v45
	v_mad_u64_u32 v[28:29], null, s8, v60, 0
	v_mov_b32_e32 v4, v31
	v_mov_b32_e32 v6, v43
	v_add_f64 v[36:37], v[8:9], v[12:13]
	v_add_f64 v[38:39], v[10:11], v[14:15]
	;; [unrolled: 1-line block ×6, first 2 shown]
	v_mov_b32_e32 v9, v49
	v_mad_u64_u32 v[40:41], null, s8, v62, 0
	v_mad_u64_u32 v[10:11], null, s9, v60, v[29:30]
	s_delay_alu instid0(VALU_DEP_2) | instskip(NEXT) | instid1(VALU_DEP_2)
	v_dual_mov_b32 v8, v47 :: v_dual_mov_b32 v5, v41
	v_mov_b32_e32 v29, v10
	s_delay_alu instid0(VALU_DEP_2)
	v_mad_u64_u32 v[11:12], null, s9, v61, v[4:5]
	v_mad_u64_u32 v[12:13], null, s9, v62, v[5:6]
	;; [unrolled: 1-line block ×5, first 2 shown]
	v_mov_b32_e32 v31, v11
	v_mad_u64_u32 v[7:8], null, s9, v66, v[9:10]
	v_mov_b32_e32 v43, v4
	v_mov_b32_e32 v45, v5
	;; [unrolled: 1-line block ×4, first 2 shown]
	v_lshlrev_b64 v[28:29], 4, v[28:29]
	v_add_f64 v[4:5], v[54:55], v[36:37]
	v_mov_b32_e32 v49, v7
	v_add_f64 v[6:7], v[38:39], -v[52:53]
	v_add_f64 v[8:9], v[34:35], v[56:57]
	v_add_f64 v[10:11], v[58:59], -v[32:33]
	v_add_f64 v[12:13], v[18:19], -v[16:17]
	v_add_f64 v[14:15], v[22:23], v[20:21]
	v_add_f64 v[16:17], v[16:17], v[18:19]
	v_add_f64 v[18:19], v[20:21], -v[22:23]
	v_add_f64 v[20:21], v[56:57], -v[34:35]
	v_add_f64 v[22:23], v[32:33], v[58:59]
	v_add_f64 v[24:25], v[36:37], -v[54:55]
	v_add_f64 v[26:27], v[52:53], v[38:39]
	v_lshlrev_b64 v[30:31], 4, v[30:31]
	v_lshlrev_b64 v[40:41], 4, v[40:41]
	v_add_co_u32 v28, vcc_lo, v50, v28
	v_add_co_ci_u32_e32 v29, vcc_lo, v51, v29, vcc_lo
	v_lshlrev_b64 v[42:43], 4, v[42:43]
	v_add_co_u32 v30, vcc_lo, v50, v30
	v_add_co_ci_u32_e32 v31, vcc_lo, v51, v31, vcc_lo
	;; [unrolled: 3-line block ×5, first 2 shown]
	v_add_co_u32 v34, vcc_lo, v50, v34
	v_add_co_ci_u32_e32 v35, vcc_lo, v51, v35, vcc_lo
	v_add_co_u32 v36, vcc_lo, v50, v36
	v_add_co_ci_u32_e32 v37, vcc_lo, v51, v37, vcc_lo
	s_clause 0x6
	global_store_b128 v[28:29], v[0:3], off
	global_store_b128 v[30:31], v[4:7], off
	;; [unrolled: 1-line block ×7, first 2 shown]
.LBB0_20:
	s_nop 0
	s_sendmsg sendmsg(MSG_DEALLOC_VGPRS)
	s_endpgm
	.section	.rodata,"a",@progbits
	.p2align	6, 0x0
	.amdhsa_kernel fft_rtc_back_len945_factors_3_3_3_5_7_wgs_63_tpt_63_halfLds_dp_ip_CI_sbrr_dirReg
		.amdhsa_group_segment_fixed_size 0
		.amdhsa_private_segment_fixed_size 0
		.amdhsa_kernarg_size 88
		.amdhsa_user_sgpr_count 15
		.amdhsa_user_sgpr_dispatch_ptr 0
		.amdhsa_user_sgpr_queue_ptr 0
		.amdhsa_user_sgpr_kernarg_segment_ptr 1
		.amdhsa_user_sgpr_dispatch_id 0
		.amdhsa_user_sgpr_private_segment_size 0
		.amdhsa_wavefront_size32 1
		.amdhsa_uses_dynamic_stack 0
		.amdhsa_enable_private_segment 0
		.amdhsa_system_sgpr_workgroup_id_x 1
		.amdhsa_system_sgpr_workgroup_id_y 0
		.amdhsa_system_sgpr_workgroup_id_z 0
		.amdhsa_system_sgpr_workgroup_info 0
		.amdhsa_system_vgpr_workitem_id 0
		.amdhsa_next_free_vgpr 188
		.amdhsa_next_free_sgpr 28
		.amdhsa_reserve_vcc 1
		.amdhsa_float_round_mode_32 0
		.amdhsa_float_round_mode_16_64 0
		.amdhsa_float_denorm_mode_32 3
		.amdhsa_float_denorm_mode_16_64 3
		.amdhsa_dx10_clamp 1
		.amdhsa_ieee_mode 1
		.amdhsa_fp16_overflow 0
		.amdhsa_workgroup_processor_mode 1
		.amdhsa_memory_ordered 1
		.amdhsa_forward_progress 0
		.amdhsa_shared_vgpr_count 0
		.amdhsa_exception_fp_ieee_invalid_op 0
		.amdhsa_exception_fp_denorm_src 0
		.amdhsa_exception_fp_ieee_div_zero 0
		.amdhsa_exception_fp_ieee_overflow 0
		.amdhsa_exception_fp_ieee_underflow 0
		.amdhsa_exception_fp_ieee_inexact 0
		.amdhsa_exception_int_div_zero 0
	.end_amdhsa_kernel
	.text
.Lfunc_end0:
	.size	fft_rtc_back_len945_factors_3_3_3_5_7_wgs_63_tpt_63_halfLds_dp_ip_CI_sbrr_dirReg, .Lfunc_end0-fft_rtc_back_len945_factors_3_3_3_5_7_wgs_63_tpt_63_halfLds_dp_ip_CI_sbrr_dirReg
                                        ; -- End function
	.section	.AMDGPU.csdata,"",@progbits
; Kernel info:
; codeLenInByte = 13968
; NumSgprs: 30
; NumVgprs: 188
; ScratchSize: 0
; MemoryBound: 1
; FloatMode: 240
; IeeeMode: 1
; LDSByteSize: 0 bytes/workgroup (compile time only)
; SGPRBlocks: 3
; VGPRBlocks: 23
; NumSGPRsForWavesPerEU: 30
; NumVGPRsForWavesPerEU: 188
; Occupancy: 8
; WaveLimiterHint : 1
; COMPUTE_PGM_RSRC2:SCRATCH_EN: 0
; COMPUTE_PGM_RSRC2:USER_SGPR: 15
; COMPUTE_PGM_RSRC2:TRAP_HANDLER: 0
; COMPUTE_PGM_RSRC2:TGID_X_EN: 1
; COMPUTE_PGM_RSRC2:TGID_Y_EN: 0
; COMPUTE_PGM_RSRC2:TGID_Z_EN: 0
; COMPUTE_PGM_RSRC2:TIDIG_COMP_CNT: 0
	.text
	.p2alignl 7, 3214868480
	.fill 96, 4, 3214868480
	.type	__hip_cuid_176b5191bb24cabe,@object ; @__hip_cuid_176b5191bb24cabe
	.section	.bss,"aw",@nobits
	.globl	__hip_cuid_176b5191bb24cabe
__hip_cuid_176b5191bb24cabe:
	.byte	0                               ; 0x0
	.size	__hip_cuid_176b5191bb24cabe, 1

	.ident	"AMD clang version 19.0.0git (https://github.com/RadeonOpenCompute/llvm-project roc-6.4.0 25133 c7fe45cf4b819c5991fe208aaa96edf142730f1d)"
	.section	".note.GNU-stack","",@progbits
	.addrsig
	.addrsig_sym __hip_cuid_176b5191bb24cabe
	.amdgpu_metadata
---
amdhsa.kernels:
  - .args:
      - .actual_access:  read_only
        .address_space:  global
        .offset:         0
        .size:           8
        .value_kind:     global_buffer
      - .offset:         8
        .size:           8
        .value_kind:     by_value
      - .actual_access:  read_only
        .address_space:  global
        .offset:         16
        .size:           8
        .value_kind:     global_buffer
      - .actual_access:  read_only
        .address_space:  global
        .offset:         24
        .size:           8
        .value_kind:     global_buffer
      - .offset:         32
        .size:           8
        .value_kind:     by_value
      - .actual_access:  read_only
        .address_space:  global
        .offset:         40
        .size:           8
        .value_kind:     global_buffer
      - .actual_access:  read_only
        .address_space:  global
        .offset:         48
        .size:           8
        .value_kind:     global_buffer
      - .offset:         56
        .size:           4
        .value_kind:     by_value
      - .actual_access:  read_only
        .address_space:  global
        .offset:         64
        .size:           8
        .value_kind:     global_buffer
      - .actual_access:  read_only
        .address_space:  global
        .offset:         72
        .size:           8
        .value_kind:     global_buffer
      - .address_space:  global
        .offset:         80
        .size:           8
        .value_kind:     global_buffer
    .group_segment_fixed_size: 0
    .kernarg_segment_align: 8
    .kernarg_segment_size: 88
    .language:       OpenCL C
    .language_version:
      - 2
      - 0
    .max_flat_workgroup_size: 63
    .name:           fft_rtc_back_len945_factors_3_3_3_5_7_wgs_63_tpt_63_halfLds_dp_ip_CI_sbrr_dirReg
    .private_segment_fixed_size: 0
    .sgpr_count:     30
    .sgpr_spill_count: 0
    .symbol:         fft_rtc_back_len945_factors_3_3_3_5_7_wgs_63_tpt_63_halfLds_dp_ip_CI_sbrr_dirReg.kd
    .uniform_work_group_size: 1
    .uses_dynamic_stack: false
    .vgpr_count:     188
    .vgpr_spill_count: 0
    .wavefront_size: 32
    .workgroup_processor_mode: 1
amdhsa.target:   amdgcn-amd-amdhsa--gfx1100
amdhsa.version:
  - 1
  - 2
...

	.end_amdgpu_metadata
